;; amdgpu-corpus repo=ROCm/rocFFT kind=compiled arch=gfx950 opt=O3
	.text
	.amdgcn_target "amdgcn-amd-amdhsa--gfx950"
	.amdhsa_code_object_version 6
	.protected	bluestein_single_back_len270_dim1_half_op_CI_CI ; -- Begin function bluestein_single_back_len270_dim1_half_op_CI_CI
	.globl	bluestein_single_back_len270_dim1_half_op_CI_CI
	.p2align	8
	.type	bluestein_single_back_len270_dim1_half_op_CI_CI,@function
bluestein_single_back_len270_dim1_half_op_CI_CI: ; @bluestein_single_back_len270_dim1_half_op_CI_CI
; %bb.0:
	s_load_dwordx4 s[16:19], s[0:1], 0x28
	v_mul_u32_u24_e32 v1, 0x97c, v0
	v_lshrrev_b32_e32 v1, 16, v1
	v_mov_b32_e32 v13, 0
	v_lshl_add_u32 v2, s2, 2, v1
	v_mov_b32_e32 v3, v13
	s_waitcnt lgkmcnt(0)
	v_cmp_gt_u64_e32 vcc, s[16:17], v[2:3]
	s_and_saveexec_b64 s[2:3], vcc
	s_cbranch_execz .LBB0_26
; %bb.1:
	s_load_dwordx4 s[4:7], s[0:1], 0x18
	s_load_dwordx4 s[8:11], s[0:1], 0x0
	v_mul_lo_u16_e32 v3, 27, v1
	v_sub_u16_e32 v0, v0, v3
	v_mov_b32_e32 v4, s18
	s_waitcnt lgkmcnt(0)
	s_load_dwordx4 s[12:15], s[4:5], 0x0
	v_mov_b32_e32 v5, s19
	v_lshlrev_b32_e32 v12, 2, v0
	global_load_dword v51, v12, s[8:9]
	v_and_b32_e32 v1, 3, v1
	s_waitcnt lgkmcnt(0)
	v_mad_u64_u32 v[6:7], s[2:3], s14, v2, 0
	v_mov_b32_e32 v8, v7
	v_mad_u64_u32 v[8:9], s[2:3], s15, v2, v[8:9]
	v_mov_b32_e32 v7, v8
	;; [unrolled: 2-line block ×4, first 2 shown]
	v_lshl_add_u64 v[4:5], v[6:7], 2, v[4:5]
	v_lshl_add_u64 v[4:5], v[8:9], 2, v[4:5]
	global_load_dword v6, v[4:5], off
	v_mov_b32_e32 v7, 0x6c
	v_mad_u64_u32 v[4:5], s[2:3], s12, v7, v[4:5]
	s_mul_i32 s4, s13, 0x6c
	v_add_u32_e32 v5, s4, v5
	global_load_dword v8, v[4:5], off
	global_load_dword v3, v12, s[8:9] offset:108
	v_mad_u64_u32 v[4:5], s[2:3], s12, v7, v[4:5]
	v_add_u32_e32 v5, s4, v5
	global_load_dword v9, v[4:5], off
	global_load_dword v50, v12, s[8:9] offset:216
	v_mad_u64_u32 v[4:5], s[2:3], s12, v7, v[4:5]
	;; [unrolled: 4-line block ×8, first 2 shown]
	v_add_u32_e32 v5, s4, v5
	global_load_dword v7, v[4:5], off
	global_load_dword v42, v12, s[8:9] offset:972
	v_mul_u32_u24_e32 v1, 0x10e, v1
	v_lshlrev_b32_e32 v52, 2, v1
	v_add_u32_e32 v46, v52, v12
	s_load_dwordx4 s[4:7], s[6:7], 0x0
	s_mov_b32 s13, 0xbb9c
	s_load_dwordx2 s[2:3], s[0:1], 0x38
	s_movk_i32 s0, 0x3b9c
	s_movk_i32 s1, 0x38b4
	s_mov_b32 s14, 0xb8b4
	s_movk_i32 s12, 0x34f2
	s_movk_i32 s15, 0x3a79
	v_cmp_gt_u16_e32 vcc, 9, v0
                                        ; implicit-def: $vgpr34
	s_waitcnt vmcnt(18)
	v_lshrrev_b32_e32 v1, 16, v6
	v_mul_f16_sdwa v4, v51, v6 dst_sel:DWORD dst_unused:UNUSED_PAD src0_sel:WORD_1 src1_sel:DWORD
	v_mul_f16_sdwa v5, v51, v1 dst_sel:DWORD dst_unused:UNUSED_PAD src0_sel:WORD_1 src1_sel:DWORD
	v_fma_f16 v1, v51, v1, -v4
	v_fma_f16 v4, v51, v6, v5
	s_waitcnt vmcnt(17)
	v_lshrrev_b32_e32 v5, 16, v8
	s_waitcnt vmcnt(16)
	v_mul_f16_sdwa v6, v3, v8 dst_sel:DWORD dst_unused:UNUSED_PAD src0_sel:WORD_1 src1_sel:DWORD
	v_pack_b32_f16 v1, v4, v1
	v_mul_f16_sdwa v4, v3, v5 dst_sel:DWORD dst_unused:UNUSED_PAD src0_sel:WORD_1 src1_sel:DWORD
	v_fma_f16 v5, v3, v5, -v6
	v_fma_f16 v4, v3, v8, v4
	s_waitcnt vmcnt(15)
	v_lshrrev_b32_e32 v6, 16, v9
	s_waitcnt vmcnt(14)
	v_mul_f16_sdwa v8, v50, v9 dst_sel:DWORD dst_unused:UNUSED_PAD src0_sel:WORD_1 src1_sel:DWORD
	v_pack_b32_f16 v4, v4, v5
	v_mul_f16_sdwa v5, v50, v6 dst_sel:DWORD dst_unused:UNUSED_PAD src0_sel:WORD_1 src1_sel:DWORD
	v_fma_f16 v6, v50, v6, -v8
	ds_write2_b32 v46, v1, v4 offset1:27
	v_fma_f16 v1, v50, v9, v5
	s_waitcnt vmcnt(13)
	v_lshrrev_b32_e32 v4, 16, v10
	s_waitcnt vmcnt(12)
	v_mul_f16_sdwa v5, v49, v10 dst_sel:DWORD dst_unused:UNUSED_PAD src0_sel:WORD_1 src1_sel:DWORD
	v_pack_b32_f16 v1, v1, v6
	v_mul_f16_sdwa v6, v49, v4 dst_sel:DWORD dst_unused:UNUSED_PAD src0_sel:WORD_1 src1_sel:DWORD
	v_fma_f16 v4, v49, v4, -v5
	v_fma_f16 v5, v49, v10, v6
	s_waitcnt vmcnt(11)
	v_lshrrev_b32_e32 v6, 16, v11
	s_waitcnt vmcnt(10)
	v_mul_f16_sdwa v8, v48, v11 dst_sel:DWORD dst_unused:UNUSED_PAD src0_sel:WORD_1 src1_sel:DWORD
	v_pack_b32_f16 v4, v5, v4
	v_mul_f16_sdwa v5, v48, v6 dst_sel:DWORD dst_unused:UNUSED_PAD src0_sel:WORD_1 src1_sel:DWORD
	ds_write2_b32 v46, v1, v4 offset0:54 offset1:81
	v_fma_f16 v1, v48, v11, v5
	v_fma_f16 v4, v48, v6, -v8
	v_pack_b32_f16 v1, v1, v4
	s_waitcnt vmcnt(9)
	v_lshrrev_b32_e32 v4, 16, v14
	s_waitcnt vmcnt(8)
	v_mul_f16_sdwa v5, v47, v4 dst_sel:DWORD dst_unused:UNUSED_PAD src0_sel:WORD_1 src1_sel:DWORD
	v_mul_f16_sdwa v6, v47, v14 dst_sel:DWORD dst_unused:UNUSED_PAD src0_sel:WORD_1 src1_sel:DWORD
	v_fma_f16 v5, v47, v14, v5
	v_fma_f16 v4, v47, v4, -v6
	v_pack_b32_f16 v4, v5, v4
	ds_write2_b32 v46, v1, v4 offset0:108 offset1:135
	s_waitcnt vmcnt(7)
	v_lshrrev_b32_e32 v1, 16, v15
	s_waitcnt vmcnt(6)
	v_mul_f16_sdwa v4, v45, v1 dst_sel:DWORD dst_unused:UNUSED_PAD src0_sel:WORD_1 src1_sel:DWORD
	v_mul_f16_sdwa v5, v45, v15 dst_sel:DWORD dst_unused:UNUSED_PAD src0_sel:WORD_1 src1_sel:DWORD
	v_fma_f16 v4, v45, v15, v4
	v_fma_f16 v1, v45, v1, -v5
	v_pack_b32_f16 v1, v4, v1
	s_waitcnt vmcnt(5)
	v_lshrrev_b32_e32 v4, 16, v16
	s_waitcnt vmcnt(4)
	v_mul_f16_sdwa v5, v44, v4 dst_sel:DWORD dst_unused:UNUSED_PAD src0_sel:WORD_1 src1_sel:DWORD
	v_mul_f16_sdwa v6, v44, v16 dst_sel:DWORD dst_unused:UNUSED_PAD src0_sel:WORD_1 src1_sel:DWORD
	v_fma_f16 v5, v44, v16, v5
	v_fma_f16 v4, v44, v4, -v6
	v_pack_b32_f16 v4, v5, v4
	ds_write2_b32 v46, v1, v4 offset0:162 offset1:189
	s_waitcnt vmcnt(3)
	v_lshrrev_b32_e32 v1, 16, v17
	s_waitcnt vmcnt(2)
	v_mul_f16_sdwa v4, v43, v1 dst_sel:DWORD dst_unused:UNUSED_PAD src0_sel:WORD_1 src1_sel:DWORD
	v_mul_f16_sdwa v5, v43, v17 dst_sel:DWORD dst_unused:UNUSED_PAD src0_sel:WORD_1 src1_sel:DWORD
	v_fma_f16 v4, v43, v17, v4
	v_fma_f16 v1, v43, v1, -v5
	v_pack_b32_f16 v1, v4, v1
	s_waitcnt vmcnt(1)
	v_lshrrev_b32_e32 v4, 16, v7
	s_waitcnt vmcnt(0)
	v_mul_f16_sdwa v5, v42, v4 dst_sel:DWORD dst_unused:UNUSED_PAD src0_sel:WORD_1 src1_sel:DWORD
	v_mul_f16_sdwa v6, v42, v7 dst_sel:DWORD dst_unused:UNUSED_PAD src0_sel:WORD_1 src1_sel:DWORD
	v_fma_f16 v5, v42, v7, v5
	v_fma_f16 v4, v42, v4, -v6
	v_pack_b32_f16 v4, v5, v4
	ds_write2_b32 v46, v1, v4 offset0:216 offset1:243
	s_waitcnt lgkmcnt(0)
	s_barrier
	ds_read2_b32 v[4:5], v46 offset1:27
	ds_read2_b32 v[6:7], v46 offset0:108 offset1:135
	ds_read2_b32 v[8:9], v46 offset0:162 offset1:189
	;; [unrolled: 1-line block ×4, first 2 shown]
	v_mul_lo_u16_e32 v1, 10, v0
	v_lshl_add_u32 v53, v1, 2, v52
	s_waitcnt lgkmcnt(2)
	v_add_f16_e32 v1, v6, v8
	v_fma_f16 v1, v1, -0.5, v4
	s_waitcnt lgkmcnt(0)
	v_sub_f16_sdwa v16, v10, v14 dst_sel:DWORD dst_unused:UNUSED_PAD src0_sel:WORD_1 src1_sel:WORD_1
	v_fma_f16 v17, v16, s0, v1
	v_sub_f16_sdwa v18, v6, v8 dst_sel:DWORD dst_unused:UNUSED_PAD src0_sel:WORD_1 src1_sel:WORD_1
	v_sub_f16_e32 v19, v14, v8
	v_sub_f16_e32 v20, v10, v6
	v_fma_f16 v1, v16, s13, v1
	v_fma_f16 v17, v18, s1, v17
	v_add_f16_e32 v19, v20, v19
	v_fma_f16 v1, v18, s14, v1
	v_fma_f16 v17, v19, s12, v17
	;; [unrolled: 1-line block ×3, first 2 shown]
	v_add_f16_e32 v19, v10, v14
	v_fma_f16 v19, v19, -0.5, v4
	v_fma_f16 v20, v18, s13, v19
	v_sub_f16_e32 v21, v8, v14
	v_sub_f16_e32 v22, v6, v10
	v_fma_f16 v18, v18, s0, v19
	v_fma_f16 v20, v16, s1, v20
	v_add_f16_e32 v21, v22, v21
	v_fma_f16 v16, v16, s14, v18
	v_pk_add_f16 v18, v4, v10
	v_add_f16_sdwa v19, v6, v8 dst_sel:DWORD dst_unused:UNUSED_PAD src0_sel:WORD_1 src1_sel:WORD_1
	v_lshrrev_b32_e32 v4, 16, v4
	v_fma_f16 v20, v21, s12, v20
	v_fma_f16 v16, v21, s12, v16
	v_fma_f16 v19, v19, -0.5, v4
	v_sub_f16_e32 v21, v10, v14
	v_fma_f16 v22, v21, s13, v19
	v_sub_f16_e32 v23, v6, v8
	v_sub_f16_sdwa v24, v10, v6 dst_sel:DWORD dst_unused:UNUSED_PAD src0_sel:WORD_1 src1_sel:WORD_1
	v_sub_f16_sdwa v25, v14, v8 dst_sel:DWORD dst_unused:UNUSED_PAD src0_sel:WORD_1 src1_sel:WORD_1
	v_fma_f16 v19, v21, s0, v19
	v_fma_f16 v22, v23, s14, v22
	v_add_f16_e32 v24, v24, v25
	v_fma_f16 v19, v23, s1, v19
	v_fma_f16 v22, v24, s12, v22
	;; [unrolled: 1-line block ×3, first 2 shown]
	v_add_f16_sdwa v24, v10, v14 dst_sel:DWORD dst_unused:UNUSED_PAD src0_sel:WORD_1 src1_sel:WORD_1
	v_pk_add_f16 v18, v18, v6
	v_fma_f16 v4, v24, -0.5, v4
	v_pk_add_f16 v18, v18, v8
	v_fma_f16 v24, v23, s0, v4
	v_sub_f16_sdwa v6, v6, v10 dst_sel:DWORD dst_unused:UNUSED_PAD src0_sel:WORD_1 src1_sel:WORD_1
	v_sub_f16_sdwa v8, v8, v14 dst_sel:DWORD dst_unused:UNUSED_PAD src0_sel:WORD_1 src1_sel:WORD_1
	v_fma_f16 v4, v23, s13, v4
	v_fma_f16 v24, v21, s14, v24
	v_add_f16_e32 v6, v6, v8
	v_fma_f16 v4, v21, s1, v4
	v_fma_f16 v8, v6, s12, v24
	;; [unrolled: 1-line block ×3, first 2 shown]
	v_add_f16_e32 v4, v7, v9
	v_fma_f16 v4, v4, -0.5, v5
	v_sub_f16_sdwa v10, v11, v15 dst_sel:DWORD dst_unused:UNUSED_PAD src0_sel:WORD_1 src1_sel:WORD_1
	v_pk_add_f16 v18, v18, v14
	v_fma_f16 v14, v10, s0, v4
	v_sub_f16_sdwa v21, v7, v9 dst_sel:DWORD dst_unused:UNUSED_PAD src0_sel:WORD_1 src1_sel:WORD_1
	v_sub_f16_e32 v23, v15, v9
	v_sub_f16_e32 v24, v11, v7
	v_fma_f16 v4, v10, s13, v4
	v_fma_f16 v14, v21, s1, v14
	v_add_f16_e32 v23, v24, v23
	v_fma_f16 v4, v21, s14, v4
	v_fma_f16 v14, v23, s12, v14
	;; [unrolled: 1-line block ×3, first 2 shown]
	v_add_f16_e32 v4, v11, v15
	v_fma_f16 v4, v4, -0.5, v5
	v_fma_f16 v24, v21, s13, v4
	v_sub_f16_e32 v25, v9, v15
	v_sub_f16_e32 v26, v7, v11
	v_fma_f16 v4, v21, s0, v4
	v_add_f16_e32 v25, v26, v25
	v_fma_f16 v4, v10, s14, v4
	v_fma_f16 v24, v10, s1, v24
	;; [unrolled: 1-line block ×3, first 2 shown]
	v_pk_add_f16 v4, v5, v11
	v_lshrrev_b32_e32 v5, 16, v5
	v_pk_add_f16 v4, v4, v7
	v_fma_f16 v24, v25, s12, v24
	v_pk_add_f16 v4, v4, v9
	v_sub_f16_e32 v25, v11, v15
	v_pk_add_f16 v21, v4, v15
	v_add_f16_sdwa v4, v7, v9 dst_sel:DWORD dst_unused:UNUSED_PAD src0_sel:WORD_1 src1_sel:WORD_1
	v_fma_f16 v4, v4, -0.5, v5
	v_fma_f16 v26, v25, s13, v4
	v_sub_f16_e32 v27, v7, v9
	v_sub_f16_sdwa v28, v11, v7 dst_sel:DWORD dst_unused:UNUSED_PAD src0_sel:WORD_1 src1_sel:WORD_1
	v_sub_f16_sdwa v29, v15, v9 dst_sel:DWORD dst_unused:UNUSED_PAD src0_sel:WORD_1 src1_sel:WORD_1
	v_fma_f16 v4, v25, s0, v4
	v_fma_f16 v26, v27, s14, v26
	v_add_f16_e32 v28, v28, v29
	v_fma_f16 v4, v27, s1, v4
	v_fma_f16 v26, v28, s12, v26
	;; [unrolled: 1-line block ×3, first 2 shown]
	v_add_f16_sdwa v4, v11, v15 dst_sel:DWORD dst_unused:UNUSED_PAD src0_sel:WORD_1 src1_sel:WORD_1
	v_fma_f16 v4, v4, -0.5, v5
	v_fma_f16 v5, v27, s0, v4
	v_sub_f16_sdwa v7, v7, v11 dst_sel:DWORD dst_unused:UNUSED_PAD src0_sel:WORD_1 src1_sel:WORD_1
	v_sub_f16_sdwa v9, v9, v15 dst_sel:DWORD dst_unused:UNUSED_PAD src0_sel:WORD_1 src1_sel:WORD_1
	v_fma_f16 v4, v27, s13, v4
	v_fma_f16 v5, v25, s14, v5
	v_add_f16_e32 v7, v7, v9
	v_fma_f16 v4, v25, s1, v4
	v_fma_f16 v5, v7, s12, v5
	;; [unrolled: 1-line block ×3, first 2 shown]
	v_mul_f16_e32 v4, 0x3a79, v14
	v_fma_f16 v9, v26, s1, v4
	v_mul_f16_e32 v4, 0x3b9c, v5
	v_fma_f16 v15, v24, s12, v4
	v_mul_f16_e32 v4, 0x34f2, v10
	v_mul_f16_e32 v14, 0xb8b4, v14
	v_fma_f16 v27, v7, s0, -v4
	v_fma_f16 v26, v26, s15, v14
	v_mul_f16_e32 v14, 0xbb9c, v24
	v_mul_f16_e32 v7, 0x34f2, v7
	;; [unrolled: 1-line block ×3, first 2 shown]
	v_fma_f16 v5, v5, s12, v14
	v_fma_f16 v7, v10, s13, -v7
	v_mul_f16_e32 v14, 0x3a79, v28
	v_add_f16_e32 v11, v17, v9
	v_add_f16_e32 v25, v20, v15
	;; [unrolled: 1-line block ×3, first 2 shown]
	v_fma_f16 v30, v28, s1, -v4
	v_add_f16_e32 v32, v22, v26
	v_add_f16_e32 v24, v8, v5
	v_add_f16_e32 v10, v6, v7
	v_fma_f16 v23, v23, s14, -v14
	v_add_f16_e32 v31, v1, v30
	v_pk_add_f16 v4, v18, v21
	v_add_f16_e32 v33, v19, v23
	v_sub_f16_e32 v9, v17, v9
	v_sub_f16_e32 v15, v20, v15
	;; [unrolled: 1-line block ×6, first 2 shown]
	v_pack_b32_f16 v5, v11, v32
	v_pack_b32_f16 v7, v29, v10
	;; [unrolled: 1-line block ×3, first 2 shown]
	v_sub_f16_e32 v16, v16, v27
	v_sub_f16_e32 v28, v19, v23
	s_barrier
	ds_write2_b64 v53, v[4:5], v[6:7] offset1:1
	v_pk_add_f16 v5, v18, v21 neg_lo:[0,1] neg_hi:[0,1]
	v_pack_b32_f16 v6, v9, v1
	v_pack_b32_f16 v7, v15, v8
	;; [unrolled: 1-line block ×3, first 2 shown]
	ds_write2_b64 v53, v[4:5], v[6:7] offset0:2 offset1:3
	v_pack_b32_f16 v5, v14, v28
	v_pack_b32_f16 v4, v16, v17
	ds_write_b64 v53, v[4:5] offset:32
	s_waitcnt lgkmcnt(0)
	s_barrier
	ds_read2_b32 v[18:19], v46 offset1:27
	ds_read2_b32 v[16:17], v46 offset0:54 offset1:90
	ds_read2_b32 v[20:21], v46 offset0:180 offset1:207
	;; [unrolled: 1-line block ×3, first 2 shown]
	ds_read_b32 v29, v46 offset:936
	v_mov_b32_e32 v1, v13
                                        ; implicit-def: $vgpr33
                                        ; implicit-def: $vgpr32
	s_and_saveexec_b64 s[0:1], vcc
	s_cbranch_execz .LBB0_3
; %bb.2:
	ds_read2_b32 v[14:15], v46 offset0:81 offset1:171
	ds_read_b32 v32, v46 offset:1044
	s_waitcnt lgkmcnt(1)
	v_lshrrev_b32_e32 v28, 16, v14
	v_lshrrev_b32_e32 v33, 16, v15
	s_waitcnt lgkmcnt(0)
	v_lshrrev_b32_e32 v34, 16, v32
.LBB0_3:
	s_or_b64 exec, exec, s[0:1]
	v_lshl_add_u64 v[26:27], v[0:1], 0, 27
	s_movk_i32 s12, 0xcd
	s_mov_b64 s[0:1], 0x51
	v_mul_lo_u16_sdwa v4, v0, s12 dst_sel:DWORD dst_unused:UNUSED_PAD src0_sel:BYTE_0 src1_sel:DWORD
	v_mul_lo_u16_sdwa v5, v26, s12 dst_sel:DWORD dst_unused:UNUSED_PAD src0_sel:BYTE_0 src1_sel:DWORD
	v_lshl_add_u64 v[30:31], v[0:1], 0, s[0:1]
	v_lshrrev_b16_e32 v35, 11, v4
	v_lshrrev_b16_e32 v37, 11, v5
	v_mul_lo_u16_sdwa v10, v30, s12 dst_sel:DWORD dst_unused:UNUSED_PAD src0_sel:BYTE_0 src1_sel:DWORD
	v_lshl_add_u64 v[22:23], v[0:1], 0, 54
	v_mul_lo_u16_e32 v4, 10, v35
	v_mul_lo_u16_e32 v5, 10, v37
	v_lshrrev_b16_e32 v10, 11, v10
	v_sub_u16_e32 v36, v0, v4
	v_sub_u16_e32 v38, v26, v5
	v_mov_b32_e32 v6, 3
	v_mul_lo_u16_sdwa v8, v22, s12 dst_sel:DWORD dst_unused:UNUSED_PAD src0_sel:BYTE_0 src1_sel:DWORD
	v_mul_lo_u16_e32 v10, 10, v10
	v_lshlrev_b16_e32 v4, 1, v36
	v_lshlrev_b32_sdwa v7, v6, v38 dst_sel:DWORD dst_unused:UNUSED_PAD src0_sel:DWORD src1_sel:BYTE_0
	v_lshrrev_b16_e32 v39, 11, v8
	v_sub_u16_e32 v54, v30, v10
	v_and_b32_e32 v4, 0xfe, v4
	global_load_dwordx2 v[8:9], v7, s[10:11]
	v_mul_lo_u16_e32 v7, 10, v39
	v_lshlrev_b16_e32 v10, 1, v54
	v_lshlrev_b32_e32 v4, 2, v4
	v_sub_u16_e32 v55, v22, v7
	v_and_b32_e32 v10, 0xfe, v10
	global_load_dwordx2 v[4:5], v4, s[10:11]
	v_lshlrev_b32_sdwa v6, v6, v55 dst_sel:DWORD dst_unused:UNUSED_PAD src0_sel:DWORD src1_sel:BYTE_0
	global_load_dwordx2 v[6:7], v6, s[10:11]
	v_lshlrev_b32_e32 v10, 2, v10
	global_load_dwordx2 v[10:11], v10, s[10:11]
	s_waitcnt lgkmcnt(3)
	v_lshrrev_b32_e32 v41, 16, v17
	s_waitcnt lgkmcnt(2)
	v_lshrrev_b32_e32 v56, 16, v20
	;; [unrolled: 2-line block ×3, first 2 shown]
	v_lshrrev_b32_e32 v40, 16, v18
	v_lshrrev_b32_e32 v59, 16, v21
	;; [unrolled: 1-line block ×3, first 2 shown]
	s_waitcnt lgkmcnt(0)
	v_lshrrev_b32_e32 v62, 16, v29
	s_movk_i32 s0, 0x3aee
	s_mov_b32 s1, 0xbaee
	v_lshrrev_b32_e32 v60, 16, v16
	v_lshrrev_b32_e32 v57, 16, v19
	s_barrier
	s_waitcnt vmcnt(3)
	v_mul_f16_sdwa v67, v58, v8 dst_sel:DWORD dst_unused:UNUSED_PAD src0_sel:DWORD src1_sel:WORD_1
	v_mul_f16_sdwa v68, v24, v8 dst_sel:DWORD dst_unused:UNUSED_PAD src0_sel:DWORD src1_sel:WORD_1
	;; [unrolled: 1-line block ×3, first 2 shown]
	v_fma_f16 v24, v24, v8, -v67
	v_mul_f16_sdwa v70, v21, v9 dst_sel:DWORD dst_unused:UNUSED_PAD src0_sel:DWORD src1_sel:WORD_1
	v_fma_f16 v21, v21, v9, -v69
	s_waitcnt vmcnt(2)
	v_mul_f16_sdwa v63, v41, v4 dst_sel:DWORD dst_unused:UNUSED_PAD src0_sel:DWORD src1_sel:WORD_1
	v_mul_f16_sdwa v64, v17, v4 dst_sel:DWORD dst_unused:UNUSED_PAD src0_sel:DWORD src1_sel:WORD_1
	;; [unrolled: 1-line block ×4, first 2 shown]
	v_fma_f16 v17, v17, v4, -v63
	v_fma_f16 v41, v41, v4, v64
	v_fma_f16 v20, v20, v5, -v65
	v_fma_f16 v56, v56, v5, v66
	s_waitcnt vmcnt(0)
	v_mul_f16_sdwa v64, v15, v10 dst_sel:DWORD dst_unused:UNUSED_PAD src0_sel:DWORD src1_sel:WORD_1
	v_mul_f16_sdwa v65, v34, v11 dst_sel:DWORD dst_unused:UNUSED_PAD src0_sel:DWORD src1_sel:WORD_1
	;; [unrolled: 1-line block ×5, first 2 shown]
	v_fma_f16 v33, v33, v10, v64
	v_fma_f16 v32, v32, v11, -v65
	v_fma_f16 v34, v34, v11, v66
	v_add_f16_e32 v64, v17, v20
	v_sub_f16_e32 v65, v41, v56
	v_add_f16_e32 v66, v40, v41
	v_add_f16_e32 v41, v41, v56
	v_mul_f16_sdwa v72, v25, v6 dst_sel:DWORD dst_unused:UNUSED_PAD src0_sel:DWORD src1_sel:WORD_1
	v_mul_f16_sdwa v73, v62, v7 dst_sel:DWORD dst_unused:UNUSED_PAD src0_sel:DWORD src1_sel:WORD_1
	v_fma_f16 v25, v25, v6, -v71
	v_fma_f16 v15, v15, v10, -v63
	v_add_f16_e32 v63, v18, v17
	v_sub_f16_e32 v17, v17, v20
	v_add_f16_e32 v67, v19, v24
	v_fma_f16 v18, v64, -0.5, v18
	v_fma_f16 v40, v41, -0.5, v40
	v_mul_f16_sdwa v74, v29, v7 dst_sel:DWORD dst_unused:UNUSED_PAD src0_sel:DWORD src1_sel:WORD_1
	v_fma_f16 v29, v29, v7, -v73
	v_add_f16_e32 v20, v63, v20
	v_add_f16_e32 v63, v66, v56
	v_fma_f16 v64, v65, s0, v18
	v_fma_f16 v18, v65, s1, v18
	;; [unrolled: 1-line block ×4, first 2 shown]
	v_add_f16_e32 v66, v67, v21
	v_add_f16_e32 v40, v24, v21
	v_sub_f16_e32 v21, v24, v21
	v_add_f16_e32 v24, v16, v25
	v_fma_f16 v61, v61, v6, v72
	v_fma_f16 v62, v62, v7, v74
	v_add_f16_e32 v69, v24, v29
	v_add_f16_e32 v24, v25, v29
	v_fma_f16 v58, v58, v8, v68
	v_fma_f16 v59, v59, v9, v70
	v_fma_f16 v16, v24, -0.5, v16
	v_sub_f16_e32 v24, v61, v62
	v_fma_f16 v19, v40, -0.5, v19
	v_sub_f16_e32 v40, v58, v59
	v_fma_f16 v70, v24, s0, v16
	v_fma_f16 v16, v24, s1, v16
	v_add_f16_e32 v24, v60, v61
	v_fma_f16 v67, v40, s0, v19
	v_fma_f16 v19, v40, s1, v19
	v_add_f16_e32 v40, v57, v58
	v_add_f16_e32 v71, v24, v62
	v_add_f16_e32 v24, v61, v62
	v_add_f16_e32 v68, v40, v59
	v_add_f16_e32 v40, v58, v59
	v_fma_f16 v24, v24, -0.5, v60
	v_sub_f16_e32 v25, v25, v29
	v_fma_f16 v40, v40, -0.5, v57
	v_fma_f16 v29, v25, s1, v24
	v_fma_f16 v61, v25, s0, v24
	v_add_f16_e32 v25, v15, v32
	v_fma_f16 v58, v21, s1, v40
	v_fma_f16 v21, v21, s0, v40
	v_add_f16_e32 v24, v14, v15
	v_fma_f16 v14, v25, -0.5, v14
	v_sub_f16_e32 v40, v33, v34
	v_fma_f16 v25, v40, s0, v14
	v_fma_f16 v41, v40, s1, v14
	v_add_f16_e32 v14, v28, v33
	v_add_f16_e32 v40, v14, v34
	;; [unrolled: 1-line block ×3, first 2 shown]
	v_fma_f16 v14, v14, -0.5, v28
	v_sub_f16_e32 v15, v15, v32
	v_fma_f16 v59, v15, s1, v14
	v_fma_f16 v60, v15, s0, v14
	v_mad_legacy_u16 v14, v35, 30, v36
	v_and_b32_e32 v14, 0xff, v14
	v_lshl_add_u32 v56, v14, 2, v52
	v_pack_b32_f16 v14, v20, v63
	v_pack_b32_f16 v15, v64, v65
	ds_write2_b32 v56, v14, v15 offset1:10
	v_pack_b32_f16 v14, v18, v17
	ds_write_b32 v56, v14 offset:80
	v_mul_lo_u16_e32 v14, 30, v37
	v_and_b32_e32 v14, 0xfe, v14
	v_add_u32_sdwa v14, v14, v38 dst_sel:DWORD dst_unused:UNUSED_PAD src0_sel:DWORD src1_sel:BYTE_0
	v_lshl_add_u32 v57, v14, 2, v52
	v_pack_b32_f16 v14, v66, v68
	v_pack_b32_f16 v15, v67, v58
	ds_write2_b32 v57, v14, v15 offset1:10
	v_pack_b32_f16 v14, v19, v21
	ds_write_b32 v57, v14 offset:80
	v_mul_u32_u24_e32 v14, 30, v39
	v_add_u32_sdwa v14, v14, v55 dst_sel:DWORD dst_unused:UNUSED_PAD src0_sel:DWORD src1_sel:BYTE_0
	v_lshl_add_u32 v58, v14, 2, v52
	v_pack_b32_f16 v14, v69, v71
	v_pack_b32_f16 v15, v70, v29
	v_add_f16_e32 v24, v24, v32
	ds_write2_b32 v58, v14, v15 offset1:10
	v_pack_b32_f16 v14, v16, v61
	ds_write_b32 v58, v14 offset:80
	s_and_saveexec_b64 s[0:1], vcc
	s_cbranch_execz .LBB0_5
; %bb.4:
	v_and_b32_e32 v14, 0xff, v54
	s_mov_b32 s12, 0x5040100
	v_lshl_add_u32 v14, v14, 2, v52
	v_perm_b32 v15, v40, v24, s12
	v_perm_b32 v16, v59, v25, s12
	ds_write2_b32 v14, v15, v16 offset0:240 offset1:250
	v_perm_b32 v15, v60, v41, s12
	ds_write_b32 v14, v15 offset:1040
.LBB0_5:
	s_or_b64 exec, exec, s[0:1]
	s_waitcnt lgkmcnt(0)
	s_barrier
	ds_read2_b32 v[34:35], v46 offset1:27
	ds_read2_b32 v[32:33], v46 offset0:54 offset1:90
	ds_read2_b32 v[38:39], v46 offset0:180 offset1:207
	ds_read2_b32 v[36:37], v46 offset0:117 offset1:144
	ds_read_b32 v61, v46 offset:936
	s_and_saveexec_b64 s[0:1], vcc
	s_cbranch_execz .LBB0_7
; %bb.6:
	ds_read2_b32 v[24:25], v46 offset0:81 offset1:171
	ds_read_b32 v41, v46 offset:1044
	s_waitcnt lgkmcnt(1)
	v_lshrrev_b32_e32 v40, 16, v24
	v_lshrrev_b32_e32 v59, 16, v25
	s_waitcnt lgkmcnt(0)
	v_lshrrev_b32_e32 v60, 16, v41
.LBB0_7:
	s_or_b64 exec, exec, s[0:1]
	v_lshl_add_u64 v[16:17], v[0:1], 0, -3
	v_cmp_gt_u16_e64 s[0:1], 3, v0
	v_lshlrev_b32_e32 v28, 3, v0
	global_load_dwordx2 v[14:15], v28, s[10:11] offset:80
	v_cndmask_b32_e64 v67, v17, v27, s[0:1]
	v_cndmask_b32_e64 v66, v16, v26, s[0:1]
	s_movk_i32 s0, 0x89
	v_mul_lo_u16_sdwa v20, v30, s0 dst_sel:DWORD dst_unused:UNUSED_PAD src0_sel:BYTE_0 src1_sel:DWORD
	v_lshrrev_b16_e32 v20, 12, v20
	v_mul_lo_u16_sdwa v19, v22, s0 dst_sel:DWORD dst_unused:UNUSED_PAD src0_sel:BYTE_0 src1_sel:DWORD
	v_mul_lo_u16_e32 v20, 30, v20
	v_lshl_add_u64 v[16:17], v[66:67], 3, s[10:11]
	global_load_dwordx2 v[16:17], v[16:17], off offset:80
	v_lshrrev_b16_e32 v65, 12, v19
	v_sub_u16_e32 v55, v30, v20
	v_mul_lo_u16_e32 v19, 30, v65
	v_mov_b32_e32 v29, 0
	v_lshlrev_b16_e32 v20, 3, v55
	v_mov_b32_e32 v18, 3
	v_sub_u16_e32 v67, v22, v19
	v_mov_b32_e32 v21, v29
	v_and_b32_e32 v20, 0xf8, v20
	v_lshlrev_b32_sdwa v18, v18, v67 dst_sel:DWORD dst_unused:UNUSED_PAD src0_sel:DWORD src1_sel:BYTE_0
	v_lshl_add_u64 v[20:21], s[10:11], 0, v[20:21]
	global_load_dwordx2 v[20:21], v[20:21], off offset:80
	s_waitcnt lgkmcnt(3)
	v_lshrrev_b32_e32 v63, 16, v33
	global_load_dwordx2 v[18:19], v18, s[10:11] offset:80
	s_waitcnt lgkmcnt(2)
	v_lshrrev_b32_e32 v64, 16, v38
	v_lshrrev_b32_e32 v62, 16, v34
	s_waitcnt lgkmcnt(1)
	v_lshrrev_b32_e32 v69, 16, v36
	v_lshrrev_b32_e32 v70, 16, v39
	s_movk_i32 s0, 0x3aee
	s_mov_b32 s1, 0xbaee
	v_lshrrev_b32_e32 v72, 16, v37
	s_waitcnt lgkmcnt(0)
	v_lshrrev_b32_e32 v73, 16, v61
	v_lshrrev_b32_e32 v68, 16, v35
	;; [unrolled: 1-line block ×3, first 2 shown]
	s_barrier
	s_waitcnt vmcnt(3)
	v_mul_f16_sdwa v75, v33, v14 dst_sel:DWORD dst_unused:UNUSED_PAD src0_sel:DWORD src1_sel:WORD_1
	v_mul_f16_sdwa v77, v38, v15 dst_sel:DWORD dst_unused:UNUSED_PAD src0_sel:DWORD src1_sel:WORD_1
	;; [unrolled: 1-line block ×4, first 2 shown]
	v_fma_f16 v63, v63, v14, v75
	v_fma_f16 v64, v64, v15, v77
	v_fma_f16 v33, v33, v14, -v74
	v_fma_f16 v38, v38, v15, -v76
	v_sub_f16_e32 v80, v63, v64
	s_waitcnt vmcnt(2)
	v_mul_f16_sdwa v74, v69, v16 dst_sel:DWORD dst_unused:UNUSED_PAD src0_sel:DWORD src1_sel:WORD_1
	v_mul_f16_sdwa v76, v70, v17 dst_sel:DWORD dst_unused:UNUSED_PAD src0_sel:DWORD src1_sel:WORD_1
	v_add_f16_e32 v81, v62, v63
	v_add_f16_e32 v63, v63, v64
	v_mul_f16_sdwa v75, v36, v16 dst_sel:DWORD dst_unused:UNUSED_PAD src0_sel:DWORD src1_sel:WORD_1
	v_mul_f16_sdwa v77, v39, v17 dst_sel:DWORD dst_unused:UNUSED_PAD src0_sel:DWORD src1_sel:WORD_1
	v_add_f16_e32 v78, v34, v33
	v_add_f16_e32 v79, v33, v38
	v_sub_f16_e32 v33, v33, v38
	v_fma_f16 v36, v36, v16, -v74
	v_fma_f16 v39, v39, v17, -v76
	v_fma_f16 v62, v63, -0.5, v62
	v_fma_f16 v69, v69, v16, v75
	v_fma_f16 v70, v70, v17, v77
	v_fma_f16 v34, v79, -0.5, v34
	v_fma_f16 v76, v33, s1, v62
	v_fma_f16 v77, v33, s0, v62
	v_add_f16_e32 v33, v35, v36
	v_add_f16_e32 v62, v36, v39
	;; [unrolled: 1-line block ×4, first 2 shown]
	v_fma_f16 v75, v80, s0, v34
	v_fma_f16 v34, v80, s1, v34
	v_sub_f16_e32 v63, v69, v70
	s_waitcnt vmcnt(0)
	v_mul_f16_sdwa v64, v72, v18 dst_sel:DWORD dst_unused:UNUSED_PAD src0_sel:DWORD src1_sel:WORD_1
	v_mul_f16_sdwa v78, v37, v18 dst_sel:DWORD dst_unused:UNUSED_PAD src0_sel:DWORD src1_sel:WORD_1
	v_mul_f16_sdwa v80, v61, v19 dst_sel:DWORD dst_unused:UNUSED_PAD src0_sel:DWORD src1_sel:WORD_1
	v_add_f16_e32 v81, v33, v39
	v_fma_f16 v33, v62, -0.5, v35
	v_mul_f16_sdwa v79, v73, v19 dst_sel:DWORD dst_unused:UNUSED_PAD src0_sel:DWORD src1_sel:WORD_1
	v_fma_f16 v35, v37, v18, -v64
	v_fma_f16 v37, v72, v18, v78
	v_fma_f16 v62, v73, v19, v80
	;; [unrolled: 1-line block ×4, first 2 shown]
	v_mul_f16_sdwa v33, v59, v20 dst_sel:DWORD dst_unused:UNUSED_PAD src0_sel:DWORD src1_sel:WORD_1
	v_mul_f16_sdwa v63, v25, v20 dst_sel:DWORD dst_unused:UNUSED_PAD src0_sel:DWORD src1_sel:WORD_1
	;; [unrolled: 1-line block ×3, first 2 shown]
	v_fma_f16 v25, v25, v20, -v33
	v_add_f16_e32 v33, v68, v69
	v_mul_f16_sdwa v64, v60, v21 dst_sel:DWORD dst_unused:UNUSED_PAD src0_sel:DWORD src1_sel:WORD_1
	v_fma_f16 v60, v60, v21, v78
	v_add_f16_e32 v78, v33, v70
	v_add_f16_e32 v33, v69, v70
	v_fma_f16 v33, v33, -0.5, v68
	v_sub_f16_e32 v36, v36, v39
	v_fma_f16 v61, v61, v19, -v79
	v_fma_f16 v39, v36, s1, v33
	v_fma_f16 v36, v36, s0, v33
	v_add_f16_e32 v33, v32, v35
	v_add_f16_e32 v68, v33, v61
	;; [unrolled: 1-line block ×3, first 2 shown]
	v_fma_f16 v32, v33, -0.5, v32
	v_sub_f16_e32 v33, v37, v62
	v_fma_f16 v69, v33, s0, v32
	v_fma_f16 v70, v33, s1, v32
	v_add_f16_e32 v32, v71, v37
	v_add_f16_e32 v79, v32, v62
	;; [unrolled: 1-line block ×3, first 2 shown]
	v_fma_f16 v41, v41, v21, -v64
	v_fma_f16 v32, v32, -0.5, v71
	v_sub_f16_e32 v33, v35, v61
	v_fma_f16 v59, v59, v20, v63
	v_fma_f16 v35, v33, s1, v32
	;; [unrolled: 1-line block ×3, first 2 shown]
	v_add_f16_e32 v33, v25, v41
	v_add_f16_e32 v32, v24, v25
	v_fma_f16 v24, v33, -0.5, v24
	v_sub_f16_e32 v61, v59, v60
	v_fma_f16 v33, v61, s0, v24
	v_fma_f16 v62, v61, s1, v24
	v_add_f16_e32 v24, v40, v59
	v_add_f16_e32 v61, v24, v60
	;; [unrolled: 1-line block ×3, first 2 shown]
	v_fma_f16 v24, v24, -0.5, v40
	v_sub_f16_e32 v25, v25, v41
	v_fma_f16 v63, v25, s1, v24
	v_fma_f16 v64, v25, s0, v24
	v_pack_b32_f16 v24, v38, v74
	v_pack_b32_f16 v25, v75, v76
	ds_write2_b32 v46, v24, v25 offset1:30
	v_pack_b32_f16 v24, v34, v77
	ds_write_b32 v46, v24 offset:240
	v_mov_b32_e32 v24, 0x5a
	v_cmp_lt_u16_e64 s[0:1], 2, v0
	v_pack_b32_f16 v25, v72, v39
	v_add_f16_e32 v32, v32, v41
	v_cndmask_b32_e64 v24, 0, v24, s[0:1]
	v_add_u32_e32 v24, v66, v24
	v_lshl_add_u32 v59, v24, 2, v52
	v_pack_b32_f16 v24, v81, v78
	ds_write2_b32 v59, v24, v25 offset1:30
	v_pack_b32_f16 v24, v73, v36
	ds_write_b32 v59, v24 offset:240
	v_mul_u32_u24_e32 v24, 0x5a, v65
	v_add_u32_sdwa v24, v24, v67 dst_sel:DWORD dst_unused:UNUSED_PAD src0_sel:DWORD src1_sel:BYTE_0
	v_lshl_add_u32 v60, v24, 2, v52
	v_pack_b32_f16 v24, v68, v79
	v_pack_b32_f16 v25, v69, v35
	ds_write2_b32 v60, v24, v25 offset1:30
	v_pack_b32_f16 v24, v70, v37
	ds_write_b32 v60, v24 offset:240
	s_and_saveexec_b64 s[0:1], vcc
	s_cbranch_execz .LBB0_9
; %bb.8:
	v_and_b32_e32 v24, 0xff, v55
	s_mov_b32 s12, 0x5040100
	v_lshl_add_u32 v24, v24, 2, v52
	v_perm_b32 v25, v61, v32, s12
	v_perm_b32 v34, v63, v33, s12
	ds_write2_b32 v24, v25, v34 offset0:180 offset1:210
	v_perm_b32 v25, v64, v62, s12
	ds_write_b32 v24, v25 offset:960
.LBB0_9:
	s_or_b64 exec, exec, s[0:1]
	s_waitcnt lgkmcnt(0)
	s_barrier
	ds_read2_b32 v[36:37], v46 offset1:27
	ds_read2_b32 v[34:35], v46 offset0:54 offset1:90
	ds_read2_b32 v[38:39], v46 offset0:180 offset1:207
	;; [unrolled: 1-line block ×3, first 2 shown]
	ds_read_b32 v65, v46 offset:936
	v_lshl_add_u64 v[24:25], s[10:11], 0, v[28:29]
	s_and_saveexec_b64 s[0:1], vcc
	s_cbranch_execz .LBB0_11
; %bb.10:
	ds_read2_b32 v[32:33], v46 offset0:81 offset1:171
	ds_read_b32 v62, v46 offset:1044
	s_waitcnt lgkmcnt(1)
	v_lshrrev_b32_e32 v61, 16, v32
	v_lshrrev_b32_e32 v63, 16, v33
	s_waitcnt lgkmcnt(0)
	v_lshrrev_b32_e32 v64, 16, v62
.LBB0_11:
	s_or_b64 exec, exec, s[0:1]
	v_lshl_add_u64 v[22:23], v[22:23], 3, s[10:11]
	global_load_dwordx2 v[24:25], v[24:25], off offset:320
	v_lshl_add_u64 v[26:27], v[26:27], 3, s[10:11]
	global_load_dwordx2 v[28:29], v[22:23], off offset:320
	v_lshl_add_u64 v[22:23], v[0:1], 0, -9
	global_load_dwordx2 v[26:27], v[26:27], off offset:320
	v_cndmask_b32_e32 v23, v23, v31, vcc
	v_cndmask_b32_e32 v22, v22, v30, vcc
	v_lshl_add_u64 v[22:23], v[22:23], 3, s[10:11]
	global_load_dwordx2 v[22:23], v[22:23], off offset:320
	v_lshl_add_u64 v[30:31], s[8:9], 0, v[12:13]
	s_waitcnt lgkmcnt(3)
	v_lshrrev_b32_e32 v12, 16, v35
	s_waitcnt lgkmcnt(2)
	v_lshrrev_b32_e32 v13, 16, v38
	;; [unrolled: 2-line block ×3, first 2 shown]
	v_lshrrev_b32_e32 v68, 16, v39
	v_lshrrev_b32_e32 v1, 16, v36
	;; [unrolled: 1-line block ×3, first 2 shown]
	s_waitcnt lgkmcnt(0)
	v_lshrrev_b32_e32 v71, 16, v65
	v_lshrrev_b32_e32 v66, 16, v37
	s_movk_i32 s0, 0x3aee
	s_mov_b32 s1, 0xbaee
	v_lshrrev_b32_e32 v69, 16, v34
	s_waitcnt vmcnt(3)
	v_mul_f16_sdwa v72, v12, v24 dst_sel:DWORD dst_unused:UNUSED_PAD src0_sel:DWORD src1_sel:WORD_1
	v_mul_f16_sdwa v73, v35, v24 dst_sel:DWORD dst_unused:UNUSED_PAD src0_sel:DWORD src1_sel:WORD_1
	v_mul_f16_sdwa v74, v13, v25 dst_sel:DWORD dst_unused:UNUSED_PAD src0_sel:DWORD src1_sel:WORD_1
	v_mul_f16_sdwa v75, v38, v25 dst_sel:DWORD dst_unused:UNUSED_PAD src0_sel:DWORD src1_sel:WORD_1
	v_fma_f16 v35, v35, v24, -v72
	v_fma_f16 v12, v12, v24, v73
	v_fma_f16 v38, v38, v25, -v74
	v_fma_f16 v13, v13, v25, v75
	s_waitcnt vmcnt(1)
	v_mul_f16_sdwa v72, v67, v26 dst_sel:DWORD dst_unused:UNUSED_PAD src0_sel:DWORD src1_sel:WORD_1
	v_mul_f16_sdwa v73, v40, v26 dst_sel:DWORD dst_unused:UNUSED_PAD src0_sel:DWORD src1_sel:WORD_1
	;; [unrolled: 1-line block ×8, first 2 shown]
	v_fma_f16 v40, v40, v26, -v72
	v_fma_f16 v67, v67, v26, v73
	v_fma_f16 v39, v39, v27, -v74
	v_fma_f16 v68, v68, v27, v75
	v_add_f16_e32 v72, v36, v35
	v_add_f16_e32 v73, v35, v38
	v_sub_f16_e32 v74, v12, v13
	v_add_f16_e32 v75, v1, v12
	v_add_f16_e32 v12, v12, v13
	v_fma_f16 v41, v41, v28, -v76
	v_fma_f16 v70, v70, v28, v77
	v_fma_f16 v65, v65, v29, -v78
	v_fma_f16 v71, v71, v29, v79
	v_sub_f16_e32 v76, v35, v38
	s_waitcnt vmcnt(0)
	v_mul_f16_sdwa v35, v63, v22 dst_sel:DWORD dst_unused:UNUSED_PAD src0_sel:DWORD src1_sel:WORD_1
	v_mul_f16_sdwa v77, v33, v22 dst_sel:DWORD dst_unused:UNUSED_PAD src0_sel:DWORD src1_sel:WORD_1
	;; [unrolled: 1-line block ×4, first 2 shown]
	v_add_f16_e32 v38, v72, v38
	v_fma_f16 v72, v73, -0.5, v36
	v_add_f16_e32 v73, v75, v13
	v_fma_f16 v1, v12, -0.5, v1
	v_add_f16_e32 v13, v40, v39
	v_add_f16_e32 v12, v37, v40
	v_sub_f16_e32 v75, v67, v68
	v_add_f16_e32 v80, v66, v67
	v_add_f16_e32 v67, v67, v68
	v_sub_f16_e32 v81, v40, v39
	v_add_f16_e32 v83, v41, v65
	v_fma_f16 v33, v33, v22, -v35
	v_fma_f16 v36, v63, v22, v77
	v_fma_f16 v35, v62, v23, -v78
	v_fma_f16 v40, v64, v23, v79
	v_fma_f16 v62, v74, s0, v72
	;; [unrolled: 1-line block ×5, first 2 shown]
	v_fma_f16 v1, v13, -0.5, v37
	v_add_f16_e32 v82, v34, v41
	v_add_f16_e32 v74, v12, v39
	v_fma_f16 v12, v67, -0.5, v66
	v_fma_f16 v13, v83, -0.5, v34
	v_fma_f16 v34, v75, s0, v1
	v_fma_f16 v67, v75, s1, v1
	v_sub_f16_e32 v1, v70, v71
	v_fma_f16 v76, v1, s0, v13
	v_fma_f16 v77, v1, s1, v13
	v_add_f16_e32 v1, v69, v70
	v_add_f16_e32 v78, v1, v71
	v_add_f16_e32 v1, v70, v71
	v_add_f16_e32 v37, v80, v68
	v_fma_f16 v68, v81, s1, v12
	v_fma_f16 v75, v81, s0, v12
	v_fma_f16 v1, v1, -0.5, v69
	v_sub_f16_e32 v12, v41, v65
	v_add_f16_e32 v66, v82, v65
	v_fma_f16 v41, v12, s1, v1
	v_fma_f16 v65, v12, s0, v1
	v_add_f16_e32 v1, v33, v35
	v_fma_f16 v1, v1, -0.5, v32
	v_sub_f16_e32 v13, v36, v40
	v_fma_f16 v12, v13, s0, v1
	v_fma_f16 v13, v13, s1, v1
	v_add_f16_e32 v1, v36, v40
	v_fma_f16 v39, v1, -0.5, v61
	v_sub_f16_e32 v69, v33, v35
	v_fma_f16 v1, v69, s1, v39
	v_fma_f16 v39, v69, s0, v39
	v_pack_b32_f16 v69, v38, v73
	v_lshl_add_u32 v38, v0, 2, v52
	v_pack_b32_f16 v62, v62, v64
	ds_write_b32 v38, v62 offset:360
	v_pack_b32_f16 v62, v63, v72
	v_pack_b32_f16 v37, v74, v37
	;; [unrolled: 1-line block ×3, first 2 shown]
	ds_write_b32 v38, v62 offset:720
	ds_write2_b32 v46, v69, v37 offset1:27
	ds_write_b32 v38, v34 offset:468
	v_pack_b32_f16 v34, v67, v75
	ds_write_b32 v38, v34 offset:828
	v_pack_b32_f16 v34, v66, v78
	;; [unrolled: 2-line block ×3, first 2 shown]
	v_pack_b32_f16 v37, v77, v65
	ds_write2_b32 v46, v34, v37 offset0:144 offset1:234
	s_and_saveexec_b64 s[0:1], vcc
	s_cbranch_execz .LBB0_13
; %bb.12:
	v_add_f16_e32 v34, v61, v36
	v_add_f16_e32 v32, v32, v33
	;; [unrolled: 1-line block ×4, first 2 shown]
	v_pack_b32_f16 v32, v32, v34
	s_mov_b32 s10, 0x5040100
	ds_write_b32 v46, v32 offset:324
	v_perm_b32 v32, v1, v12, s10
	v_perm_b32 v33, v39, v13, s10
	v_add_u32_e32 v34, 0x200, v38
	ds_write2_b32 v34, v32, v33 offset0:43 offset1:133
.LBB0_13:
	s_or_b64 exec, exec, s[0:1]
	s_waitcnt lgkmcnt(0)
	s_barrier
	global_load_dword v40, v[30:31], off offset:1080
	s_add_u32 s0, s8, 0x438
	s_addc_u32 s1, s9, 0
	v_lshlrev_b32_e32 v30, 2, v0
	global_load_dword v41, v30, s[0:1] offset:108
	global_load_dword v61, v30, s[0:1] offset:216
	;; [unrolled: 1-line block ×9, first 2 shown]
	ds_read2_b32 v[30:31], v46 offset1:27
	ds_read2_b32 v[32:33], v46 offset0:54 offset1:108
	ds_read2_b32 v[34:35], v46 offset0:135 offset1:162
	ds_read2_b32 v[36:37], v46 offset0:189 offset1:216
	ds_read_b32 v69, v38 offset:324
	ds_read_b32 v70, v46 offset:972
	s_waitcnt lgkmcnt(5)
	v_lshrrev_b32_e32 v71, 16, v30
	v_lshrrev_b32_e32 v72, 16, v31
	s_waitcnt lgkmcnt(4)
	v_lshrrev_b32_e32 v73, 16, v32
	s_waitcnt lgkmcnt(1)
	v_lshrrev_b32_e32 v74, 16, v69
	v_lshrrev_b32_e32 v75, 16, v33
	;; [unrolled: 1-line block ×6, first 2 shown]
	s_waitcnt lgkmcnt(0)
	v_lshrrev_b32_e32 v80, 16, v70
	s_mov_b32 s0, 0xbb9c
	s_movk_i32 s9, 0x3b9c
	s_mov_b32 s1, 0xb8b4
	s_movk_i32 s10, 0x38b4
	s_movk_i32 s8, 0x34f2
	s_waitcnt vmcnt(6)
	v_mul_f16_sdwa v83, v74, v62 dst_sel:DWORD dst_unused:UNUSED_PAD src0_sel:DWORD src1_sel:WORD_1
	v_mul_f16_sdwa v84, v69, v62 dst_sel:DWORD dst_unused:UNUSED_PAD src0_sel:DWORD src1_sel:WORD_1
	;; [unrolled: 1-line block ×4, first 2 shown]
	v_fma_f16 v30, v30, v40, -v81
	v_fma_f16 v40, v71, v40, v82
	v_pack_b32_f16 v30, v30, v40
	v_mul_f16_sdwa v40, v72, v41 dst_sel:DWORD dst_unused:UNUSED_PAD src0_sel:DWORD src1_sel:WORD_1
	v_mul_f16_sdwa v71, v31, v41 dst_sel:DWORD dst_unused:UNUSED_PAD src0_sel:DWORD src1_sel:WORD_1
	;; [unrolled: 1-line block ×4, first 2 shown]
	s_waitcnt vmcnt(5)
	v_mul_f16_sdwa v85, v75, v63 dst_sel:DWORD dst_unused:UNUSED_PAD src0_sel:DWORD src1_sel:WORD_1
	v_mul_f16_sdwa v86, v33, v63 dst_sel:DWORD dst_unused:UNUSED_PAD src0_sel:DWORD src1_sel:WORD_1
	s_waitcnt vmcnt(4)
	v_mul_f16_sdwa v87, v76, v64 dst_sel:DWORD dst_unused:UNUSED_PAD src0_sel:DWORD src1_sel:WORD_1
	v_mul_f16_sdwa v88, v34, v64 dst_sel:DWORD dst_unused:UNUSED_PAD src0_sel:DWORD src1_sel:WORD_1
	s_waitcnt vmcnt(3)
	v_mul_f16_sdwa v89, v77, v65 dst_sel:DWORD dst_unused:UNUSED_PAD src0_sel:DWORD src1_sel:WORD_1
	v_mul_f16_sdwa v90, v35, v65 dst_sel:DWORD dst_unused:UNUSED_PAD src0_sel:DWORD src1_sel:WORD_1
	s_waitcnt vmcnt(2)
	v_mul_f16_sdwa v91, v78, v66 dst_sel:DWORD dst_unused:UNUSED_PAD src0_sel:DWORD src1_sel:WORD_1
	v_mul_f16_sdwa v92, v36, v66 dst_sel:DWORD dst_unused:UNUSED_PAD src0_sel:DWORD src1_sel:WORD_1
	s_waitcnt vmcnt(1)
	v_mul_f16_sdwa v93, v79, v67 dst_sel:DWORD dst_unused:UNUSED_PAD src0_sel:DWORD src1_sel:WORD_1
	v_mul_f16_sdwa v94, v37, v67 dst_sel:DWORD dst_unused:UNUSED_PAD src0_sel:DWORD src1_sel:WORD_1
	s_waitcnt vmcnt(0)
	v_mul_f16_sdwa v95, v80, v68 dst_sel:DWORD dst_unused:UNUSED_PAD src0_sel:DWORD src1_sel:WORD_1
	v_mul_f16_sdwa v96, v70, v68 dst_sel:DWORD dst_unused:UNUSED_PAD src0_sel:DWORD src1_sel:WORD_1
	v_fma_f16 v31, v31, v41, -v40
	v_fma_f16 v40, v72, v41, v71
	v_fma_f16 v32, v32, v61, -v81
	v_fma_f16 v41, v73, v61, v82
	;; [unrolled: 2-line block ×9, first 2 shown]
	v_pack_b32_f16 v31, v31, v40
	v_pack_b32_f16 v32, v32, v41
	;; [unrolled: 1-line block ×8, first 2 shown]
	ds_write2_b32 v46, v30, v31 offset1:27
	ds_write_b32 v38, v40 offset:324
	ds_write2_b32 v46, v32, v33 offset0:54 offset1:108
	ds_write2_b32 v46, v34, v35 offset0:135 offset1:162
	;; [unrolled: 1-line block ×3, first 2 shown]
	v_pack_b32_f16 v30, v69, v68
	ds_write_b32 v46, v30 offset:972
	s_waitcnt lgkmcnt(0)
	s_barrier
	ds_read2_b32 v[30:31], v46 offset0:54 offset1:108
	ds_read2_b32 v[32:33], v46 offset0:135 offset1:162
	ds_read2_b32 v[34:35], v46 offset1:27
	ds_read2_b32 v[36:37], v46 offset0:189 offset1:216
	ds_read_b32 v40, v38 offset:324
	ds_read_b32 v41, v46 offset:972
	s_waitcnt lgkmcnt(4)
	v_add_f16_e32 v61, v31, v33
	s_waitcnt lgkmcnt(3)
	v_fma_f16 v61, v61, -0.5, v34
	s_waitcnt lgkmcnt(2)
	v_sub_f16_sdwa v62, v30, v37 dst_sel:DWORD dst_unused:UNUSED_PAD src0_sel:WORD_1 src1_sel:WORD_1
	v_fma_f16 v63, v62, s0, v61
	v_sub_f16_sdwa v64, v31, v33 dst_sel:DWORD dst_unused:UNUSED_PAD src0_sel:WORD_1 src1_sel:WORD_1
	v_sub_f16_e32 v65, v37, v33
	v_sub_f16_e32 v66, v30, v31
	v_fma_f16 v61, v62, s9, v61
	v_fma_f16 v63, v64, s1, v63
	v_add_f16_e32 v65, v66, v65
	v_fma_f16 v61, v64, s10, v61
	v_fma_f16 v63, v65, s8, v63
	;; [unrolled: 1-line block ×3, first 2 shown]
	v_add_f16_e32 v65, v30, v37
	v_fma_f16 v65, v65, -0.5, v34
	v_fma_f16 v66, v64, s9, v65
	v_sub_f16_e32 v67, v33, v37
	v_sub_f16_e32 v68, v31, v30
	v_fma_f16 v64, v64, s0, v65
	v_fma_f16 v66, v62, s1, v66
	v_add_f16_e32 v67, v68, v67
	v_fma_f16 v62, v62, s10, v64
	v_pk_add_f16 v64, v34, v30
	v_add_f16_sdwa v65, v31, v33 dst_sel:DWORD dst_unused:UNUSED_PAD src0_sel:WORD_1 src1_sel:WORD_1
	v_lshrrev_b32_e32 v34, 16, v34
	v_fma_f16 v66, v67, s8, v66
	v_fma_f16 v62, v67, s8, v62
	v_fma_f16 v65, v65, -0.5, v34
	v_sub_f16_e32 v67, v30, v37
	v_fma_f16 v68, v67, s9, v65
	v_sub_f16_e32 v69, v31, v33
	v_sub_f16_sdwa v70, v30, v31 dst_sel:DWORD dst_unused:UNUSED_PAD src0_sel:WORD_1 src1_sel:WORD_1
	v_sub_f16_sdwa v71, v37, v33 dst_sel:DWORD dst_unused:UNUSED_PAD src0_sel:WORD_1 src1_sel:WORD_1
	v_fma_f16 v65, v67, s0, v65
	v_fma_f16 v68, v69, s10, v68
	v_add_f16_e32 v70, v70, v71
	v_fma_f16 v65, v69, s1, v65
	v_fma_f16 v68, v70, s8, v68
	;; [unrolled: 1-line block ×3, first 2 shown]
	v_add_f16_sdwa v70, v30, v37 dst_sel:DWORD dst_unused:UNUSED_PAD src0_sel:WORD_1 src1_sel:WORD_1
	v_pk_add_f16 v64, v64, v31
	v_fma_f16 v34, v70, -0.5, v34
	v_pk_add_f16 v64, v64, v33
	v_fma_f16 v70, v69, s0, v34
	v_sub_f16_sdwa v30, v31, v30 dst_sel:DWORD dst_unused:UNUSED_PAD src0_sel:WORD_1 src1_sel:WORD_1
	v_sub_f16_sdwa v31, v33, v37 dst_sel:DWORD dst_unused:UNUSED_PAD src0_sel:WORD_1 src1_sel:WORD_1
	v_fma_f16 v33, v69, s9, v34
	v_fma_f16 v70, v67, s10, v70
	v_add_f16_e32 v30, v30, v31
	v_fma_f16 v33, v67, s1, v33
	v_fma_f16 v31, v30, s8, v70
	;; [unrolled: 1-line block ×3, first 2 shown]
	v_add_f16_e32 v30, v32, v36
	v_fma_f16 v30, v30, -0.5, v35
	s_waitcnt lgkmcnt(0)
	v_sub_f16_sdwa v34, v40, v41 dst_sel:DWORD dst_unused:UNUSED_PAD src0_sel:WORD_1 src1_sel:WORD_1
	v_pk_add_f16 v64, v64, v37
	v_fma_f16 v37, v34, s0, v30
	v_sub_f16_sdwa v67, v32, v36 dst_sel:DWORD dst_unused:UNUSED_PAD src0_sel:WORD_1 src1_sel:WORD_1
	v_sub_f16_e32 v69, v40, v32
	v_sub_f16_e32 v70, v41, v36
	v_fma_f16 v30, v34, s9, v30
	v_fma_f16 v37, v67, s1, v37
	v_add_f16_e32 v69, v69, v70
	v_fma_f16 v30, v67, s10, v30
	v_fma_f16 v37, v69, s8, v37
	;; [unrolled: 1-line block ×3, first 2 shown]
	v_add_f16_e32 v30, v40, v41
	v_fma_f16 v30, v30, -0.5, v35
	v_fma_f16 v70, v67, s9, v30
	v_sub_f16_e32 v71, v32, v40
	v_sub_f16_e32 v72, v36, v41
	v_fma_f16 v30, v67, s0, v30
	v_add_f16_e32 v71, v71, v72
	v_fma_f16 v30, v34, s10, v30
	v_fma_f16 v70, v34, s1, v70
	;; [unrolled: 1-line block ×3, first 2 shown]
	v_pk_add_f16 v30, v35, v40
	v_lshrrev_b32_e32 v35, 16, v35
	v_pk_add_f16 v30, v30, v32
	v_fma_f16 v70, v71, s8, v70
	v_pk_add_f16 v30, v30, v36
	v_sub_f16_e32 v71, v40, v41
	v_pk_add_f16 v67, v30, v41
	v_add_f16_sdwa v30, v32, v36 dst_sel:DWORD dst_unused:UNUSED_PAD src0_sel:WORD_1 src1_sel:WORD_1
	v_fma_f16 v30, v30, -0.5, v35
	v_fma_f16 v72, v71, s9, v30
	v_sub_f16_e32 v73, v32, v36
	v_sub_f16_sdwa v74, v40, v32 dst_sel:DWORD dst_unused:UNUSED_PAD src0_sel:WORD_1 src1_sel:WORD_1
	v_sub_f16_sdwa v75, v41, v36 dst_sel:DWORD dst_unused:UNUSED_PAD src0_sel:WORD_1 src1_sel:WORD_1
	v_fma_f16 v30, v71, s0, v30
	v_fma_f16 v72, v73, s10, v72
	v_add_f16_e32 v74, v74, v75
	v_fma_f16 v30, v73, s1, v30
	v_fma_f16 v72, v74, s8, v72
	;; [unrolled: 1-line block ×3, first 2 shown]
	v_add_f16_sdwa v30, v40, v41 dst_sel:DWORD dst_unused:UNUSED_PAD src0_sel:WORD_1 src1_sel:WORD_1
	v_fma_f16 v30, v30, -0.5, v35
	v_fma_f16 v35, v73, s0, v30
	v_sub_f16_sdwa v32, v32, v40 dst_sel:DWORD dst_unused:UNUSED_PAD src0_sel:WORD_1 src1_sel:WORD_1
	v_sub_f16_sdwa v36, v36, v41 dst_sel:DWORD dst_unused:UNUSED_PAD src0_sel:WORD_1 src1_sel:WORD_1
	v_fma_f16 v30, v73, s9, v30
	v_fma_f16 v35, v71, s10, v35
	v_add_f16_e32 v32, v32, v36
	v_fma_f16 v30, v71, s1, v30
	v_fma_f16 v35, v32, s8, v35
	;; [unrolled: 1-line block ×3, first 2 shown]
	v_mul_f16_e32 v30, 0xb8b4, v72
	s_movk_i32 s0, 0x3a79
	v_fma_f16 v36, v37, s0, v30
	v_mul_f16_e32 v30, 0xbb9c, v35
	v_fma_f16 v40, v70, s8, v30
	v_mul_f16_e32 v30, 0xbb9c, v32
	s_mov_b32 s1, 0xb4f2
	v_mul_f16_e32 v37, 0x38b4, v37
	v_mul_f16_e32 v35, 0x34f2, v35
	;; [unrolled: 1-line block ×3, first 2 shown]
	v_fma_f16 v41, v34, s1, v30
	v_mul_f16_e32 v30, 0xb8b4, v74
	s_mov_b32 s1, 0xba79
	v_fma_f16 v37, v72, s0, v37
	v_fma_f16 v35, v70, s9, v35
	;; [unrolled: 1-line block ×3, first 2 shown]
	v_mul_f16_e32 v74, 0xba79, v74
	v_add_f16_e32 v71, v63, v36
	v_add_f16_e32 v73, v66, v40
	;; [unrolled: 1-line block ×3, first 2 shown]
	v_fma_f16 v76, v69, s1, v30
	v_add_f16_e32 v72, v68, v37
	v_add_f16_e32 v70, v31, v35
	;; [unrolled: 1-line block ×3, first 2 shown]
	v_fma_f16 v69, v69, s10, v74
	v_add_f16_e32 v77, v61, v76
	v_pk_add_f16 v30, v64, v67
	v_add_f16_e32 v74, v65, v69
	v_sub_f16_e32 v36, v63, v36
	v_sub_f16_e32 v63, v66, v40
	;; [unrolled: 1-line block ×6, first 2 shown]
	v_pack_b32_f16 v33, v75, v34
	v_pack_b32_f16 v32, v73, v70
	v_pack_b32_f16 v31, v71, v72
	v_sub_f16_e32 v62, v62, v41
	v_sub_f16_e32 v41, v65, v69
	s_barrier
	ds_write2_b64 v53, v[30:31], v[32:33] offset1:1
	v_pk_add_f16 v31, v64, v67 neg_lo:[0,1] neg_hi:[0,1]
	v_pack_b32_f16 v33, v63, v35
	v_pack_b32_f16 v32, v36, v37
	v_pack_b32_f16 v30, v77, v74
	ds_write2_b64 v53, v[30:31], v[32:33] offset0:2 offset1:3
	v_pack_b32_f16 v31, v40, v41
	v_pack_b32_f16 v30, v62, v61
	ds_write_b64 v53, v[30:31] offset:32
	s_waitcnt lgkmcnt(0)
	s_barrier
	ds_read2_b32 v[32:33], v46 offset1:27
	ds_read2_b32 v[30:31], v46 offset0:54 offset1:90
	ds_read2_b32 v[36:37], v46 offset0:180 offset1:207
	;; [unrolled: 1-line block ×3, first 2 shown]
	ds_read_b32 v53, v46 offset:936
	s_and_saveexec_b64 s[0:1], vcc
	s_cbranch_execz .LBB0_15
; %bb.14:
	v_add_u32_e32 v1, 0x200, v46
	ds_read_b32 v40, v38 offset:324
	ds_read2_b32 v[12:13], v1 offset0:43 offset1:133
	s_waitcnt lgkmcnt(1)
	v_lshrrev_b32_e32 v41, 16, v40
	s_waitcnt lgkmcnt(0)
	v_lshrrev_b32_e32 v1, 16, v12
	v_lshrrev_b32_e32 v39, 16, v13
.LBB0_15:
	s_or_b64 exec, exec, s[0:1]
	s_waitcnt lgkmcnt(3)
	v_lshrrev_b32_e32 v62, 16, v31
	v_mul_f16_sdwa v70, v4, v62 dst_sel:DWORD dst_unused:UNUSED_PAD src0_sel:WORD_1 src1_sel:DWORD
	s_waitcnt lgkmcnt(2)
	v_lshrrev_b32_e32 v63, 16, v36
	v_fma_f16 v70, v4, v31, v70
	v_mul_f16_sdwa v31, v4, v31 dst_sel:DWORD dst_unused:UNUSED_PAD src0_sel:WORD_1 src1_sel:DWORD
	v_fma_f16 v4, v4, v62, -v31
	v_mul_f16_sdwa v31, v5, v63 dst_sel:DWORD dst_unused:UNUSED_PAD src0_sel:WORD_1 src1_sel:DWORD
	s_waitcnt lgkmcnt(1)
	v_lshrrev_b32_e32 v65, 16, v34
	v_fma_f16 v31, v5, v36, v31
	v_mul_f16_sdwa v36, v5, v36 dst_sel:DWORD dst_unused:UNUSED_PAD src0_sel:WORD_1 src1_sel:DWORD
	v_fma_f16 v5, v5, v63, -v36
	v_mul_f16_sdwa v36, v8, v65 dst_sel:DWORD dst_unused:UNUSED_PAD src0_sel:WORD_1 src1_sel:DWORD
	v_lshrrev_b32_e32 v66, 16, v37
	v_fma_f16 v36, v8, v34, v36
	v_mul_f16_sdwa v34, v8, v34 dst_sel:DWORD dst_unused:UNUSED_PAD src0_sel:WORD_1 src1_sel:DWORD
	v_fma_f16 v8, v8, v65, -v34
	v_mul_f16_sdwa v34, v9, v66 dst_sel:DWORD dst_unused:UNUSED_PAD src0_sel:WORD_1 src1_sel:DWORD
	;; [unrolled: 5-line block ×3, first 2 shown]
	s_waitcnt lgkmcnt(0)
	v_lshrrev_b32_e32 v69, 16, v53
	v_fma_f16 v37, v6, v35, v37
	v_mul_f16_sdwa v35, v6, v35 dst_sel:DWORD dst_unused:UNUSED_PAD src0_sel:WORD_1 src1_sel:DWORD
	v_fma_f16 v6, v6, v68, -v35
	v_mul_f16_sdwa v35, v7, v69 dst_sel:DWORD dst_unused:UNUSED_PAD src0_sel:WORD_1 src1_sel:DWORD
	v_fma_f16 v35, v7, v53, v35
	v_mul_f16_sdwa v53, v7, v53 dst_sel:DWORD dst_unused:UNUSED_PAD src0_sel:WORD_1 src1_sel:DWORD
	v_fma_f16 v7, v7, v69, -v53
	v_mul_f16_sdwa v53, v10, v1 dst_sel:DWORD dst_unused:UNUSED_PAD src0_sel:WORD_1 src1_sel:DWORD
	;; [unrolled: 4-line block ×3, first 2 shown]
	v_fma_f16 v10, v11, v13, v10
	v_mul_f16_sdwa v12, v11, v13 dst_sel:DWORD dst_unused:UNUSED_PAD src0_sel:WORD_1 src1_sel:DWORD
	v_add_f16_e32 v13, v70, v31
	v_lshrrev_b32_e32 v61, 16, v32
	v_fma_f16 v11, v11, v39, -v12
	v_add_f16_e32 v12, v32, v70
	v_fma_f16 v13, v13, -0.5, v32
	v_sub_f16_e32 v32, v4, v5
	s_mov_b32 s0, 0xbaee
	s_movk_i32 s1, 0x3aee
	v_fma_f16 v39, v32, s0, v13
	v_fma_f16 v13, v32, s1, v13
	v_add_f16_e32 v32, v61, v4
	v_add_f16_e32 v4, v4, v5
	;; [unrolled: 1-line block ×3, first 2 shown]
	v_fma_f16 v4, v4, -0.5, v61
	v_sub_f16_e32 v5, v70, v31
	v_fma_f16 v61, v5, s1, v4
	v_fma_f16 v63, v5, s0, v4
	v_add_f16_e32 v4, v33, v36
	v_add_f16_e32 v65, v4, v34
	;; [unrolled: 1-line block ×3, first 2 shown]
	v_lshrrev_b32_e32 v64, 16, v33
	v_fma_f16 v4, v4, -0.5, v33
	v_sub_f16_e32 v5, v8, v9
	v_fma_f16 v33, v5, s0, v4
	v_fma_f16 v66, v5, s1, v4
	v_add_f16_e32 v4, v64, v8
	v_add_f16_e32 v68, v4, v9
	;; [unrolled: 1-line block ×3, first 2 shown]
	v_fma_f16 v4, v4, -0.5, v64
	v_sub_f16_e32 v5, v36, v34
	v_fma_f16 v8, v5, s1, v4
	v_fma_f16 v9, v5, s0, v4
	v_add_f16_e32 v4, v30, v37
	v_add_f16_e32 v34, v4, v35
	;; [unrolled: 1-line block ×3, first 2 shown]
	v_lshrrev_b32_e32 v67, 16, v30
	v_fma_f16 v4, v4, -0.5, v30
	v_sub_f16_e32 v5, v6, v7
	v_fma_f16 v36, v5, s0, v4
	v_fma_f16 v64, v5, s1, v4
	v_add_f16_e32 v4, v67, v6
	v_add_f16_e32 v69, v4, v7
	;; [unrolled: 1-line block ×3, first 2 shown]
	v_fma_f16 v4, v4, -0.5, v67
	v_sub_f16_e32 v5, v37, v35
	v_fma_f16 v6, v5, s1, v4
	v_fma_f16 v7, v5, s0, v4
	v_add_f16_e32 v4, v40, v53
	v_add_f16_e32 v30, v4, v10
	;; [unrolled: 1-line block ×4, first 2 shown]
	v_fma_f16 v5, v4, -0.5, v40
	v_sub_f16_e32 v31, v1, v11
	v_fma_f16 v4, v31, s0, v5
	v_fma_f16 v5, v31, s1, v5
	v_add_f16_e32 v31, v41, v1
	v_add_f16_e32 v1, v1, v11
	;; [unrolled: 1-line block ×3, first 2 shown]
	v_fma_f16 v11, v1, -0.5, v41
	v_sub_f16_e32 v10, v53, v10
	v_fma_f16 v1, v10, s1, v11
	v_fma_f16 v32, v10, s0, v11
	v_pack_b32_f16 v10, v12, v62
	v_pack_b32_f16 v11, v39, v61
	s_barrier
	ds_write2_b32 v56, v10, v11 offset1:10
	v_pack_b32_f16 v10, v13, v63
	ds_write_b32 v56, v10 offset:80
	v_pack_b32_f16 v10, v65, v68
	v_pack_b32_f16 v8, v33, v8
	ds_write2_b32 v57, v10, v8 offset1:10
	v_pack_b32_f16 v8, v66, v9
	ds_write_b32 v57, v8 offset:80
	v_pack_b32_f16 v8, v34, v69
	v_pack_b32_f16 v6, v36, v6
	ds_write2_b32 v58, v8, v6 offset1:10
	v_pack_b32_f16 v6, v64, v7
	ds_write_b32 v58, v6 offset:80
	s_and_saveexec_b64 s[0:1], vcc
	s_cbranch_execz .LBB0_17
; %bb.16:
	v_and_b32_e32 v6, 0xff, v54
	s_mov_b32 s8, 0x5040100
	v_lshl_add_u32 v6, v6, 2, v52
	v_perm_b32 v7, v31, v30, s8
	v_perm_b32 v8, v1, v4, s8
	ds_write2_b32 v6, v7, v8 offset0:240 offset1:250
	v_perm_b32 v7, v32, v5, s8
	ds_write_b32 v6, v7 offset:1040
.LBB0_17:
	s_or_b64 exec, exec, s[0:1]
	s_waitcnt lgkmcnt(0)
	s_barrier
	ds_read2_b32 v[8:9], v46 offset1:27
	ds_read2_b32 v[6:7], v46 offset0:54 offset1:90
	ds_read2_b32 v[12:13], v46 offset0:180 offset1:207
	;; [unrolled: 1-line block ×3, first 2 shown]
	ds_read_b32 v33, v46 offset:936
	s_and_saveexec_b64 s[0:1], vcc
	s_cbranch_execz .LBB0_19
; %bb.18:
	v_add_u32_e32 v1, 0x200, v46
	ds_read_b32 v30, v38 offset:324
	ds_read2_b32 v[4:5], v1 offset0:43 offset1:133
	s_waitcnt lgkmcnt(1)
	v_lshrrev_b32_e32 v31, 16, v30
	s_waitcnt lgkmcnt(0)
	v_lshrrev_b32_e32 v1, 16, v4
	v_lshrrev_b32_e32 v32, 16, v5
.LBB0_19:
	s_or_b64 exec, exec, s[0:1]
	s_waitcnt lgkmcnt(3)
	v_lshrrev_b32_e32 v35, 16, v7
	v_mul_f16_sdwa v56, v14, v35 dst_sel:DWORD dst_unused:UNUSED_PAD src0_sel:WORD_1 src1_sel:DWORD
	s_waitcnt lgkmcnt(2)
	v_lshrrev_b32_e32 v36, 16, v12
	v_fma_f16 v56, v14, v7, v56
	v_mul_f16_sdwa v7, v14, v7 dst_sel:DWORD dst_unused:UNUSED_PAD src0_sel:WORD_1 src1_sel:DWORD
	v_fma_f16 v7, v14, v35, -v7
	v_mul_f16_sdwa v14, v15, v36 dst_sel:DWORD dst_unused:UNUSED_PAD src0_sel:WORD_1 src1_sel:DWORD
	s_waitcnt lgkmcnt(1)
	v_lshrrev_b32_e32 v39, 16, v10
	v_fma_f16 v14, v15, v12, v14
	v_mul_f16_sdwa v12, v15, v12 dst_sel:DWORD dst_unused:UNUSED_PAD src0_sel:WORD_1 src1_sel:DWORD
	v_fma_f16 v12, v15, v36, -v12
	v_mul_f16_sdwa v15, v16, v39 dst_sel:DWORD dst_unused:UNUSED_PAD src0_sel:WORD_1 src1_sel:DWORD
	v_lshrrev_b32_e32 v40, 16, v13
	v_fma_f16 v15, v16, v10, v15
	v_mul_f16_sdwa v10, v16, v10 dst_sel:DWORD dst_unused:UNUSED_PAD src0_sel:WORD_1 src1_sel:DWORD
	v_fma_f16 v10, v16, v39, -v10
	v_mul_f16_sdwa v16, v17, v40 dst_sel:DWORD dst_unused:UNUSED_PAD src0_sel:WORD_1 src1_sel:DWORD
	;; [unrolled: 5-line block ×3, first 2 shown]
	s_waitcnt lgkmcnt(0)
	v_lshrrev_b32_e32 v54, 16, v33
	v_fma_f16 v17, v18, v11, v17
	v_mul_f16_sdwa v11, v18, v11 dst_sel:DWORD dst_unused:UNUSED_PAD src0_sel:WORD_1 src1_sel:DWORD
	v_fma_f16 v11, v18, v53, -v11
	v_mul_f16_sdwa v18, v19, v54 dst_sel:DWORD dst_unused:UNUSED_PAD src0_sel:WORD_1 src1_sel:DWORD
	v_fma_f16 v18, v19, v33, v18
	v_mul_f16_sdwa v33, v19, v33 dst_sel:DWORD dst_unused:UNUSED_PAD src0_sel:WORD_1 src1_sel:DWORD
	v_fma_f16 v19, v19, v54, -v33
	v_mul_f16_sdwa v33, v20, v1 dst_sel:DWORD dst_unused:UNUSED_PAD src0_sel:WORD_1 src1_sel:DWORD
	;; [unrolled: 4-line block ×3, first 2 shown]
	v_fma_f16 v35, v21, v5, v1
	v_mul_f16_sdwa v1, v21, v5 dst_sel:DWORD dst_unused:UNUSED_PAD src0_sel:WORD_1 src1_sel:DWORD
	v_fma_f16 v21, v21, v32, -v1
	v_add_f16_e32 v1, v8, v56
	v_add_f16_e32 v32, v1, v14
	;; [unrolled: 1-line block ×3, first 2 shown]
	v_lshrrev_b32_e32 v34, 16, v8
	v_fma_f16 v1, v1, -0.5, v8
	v_sub_f16_e32 v4, v7, v12
	s_mov_b32 s0, 0xbaee
	s_movk_i32 s1, 0x3aee
	v_fma_f16 v8, v4, s0, v1
	v_fma_f16 v36, v4, s1, v1
	v_add_f16_e32 v1, v34, v7
	v_add_f16_e32 v39, v1, v12
	;; [unrolled: 1-line block ×3, first 2 shown]
	v_fma_f16 v1, v1, -0.5, v34
	v_sub_f16_e32 v4, v56, v14
	v_fma_f16 v7, v4, s1, v1
	v_fma_f16 v12, v4, s0, v1
	v_add_f16_e32 v1, v9, v15
	v_add_f16_e32 v34, v1, v16
	v_add_f16_e32 v1, v15, v16
	v_lshrrev_b32_e32 v37, 16, v9
	v_fma_f16 v1, v1, -0.5, v9
	v_sub_f16_e32 v4, v10, v13
	v_fma_f16 v9, v4, s0, v1
	v_fma_f16 v40, v4, s1, v1
	v_add_f16_e32 v1, v37, v10
	v_add_f16_e32 v53, v1, v13
	;; [unrolled: 1-line block ×3, first 2 shown]
	v_fma_f16 v1, v1, -0.5, v37
	v_sub_f16_e32 v4, v15, v16
	v_fma_f16 v10, v4, s1, v1
	v_fma_f16 v13, v4, s0, v1
	v_add_f16_e32 v1, v6, v17
	v_add_f16_e32 v37, v1, v18
	;; [unrolled: 1-line block ×3, first 2 shown]
	v_lshrrev_b32_e32 v41, 16, v6
	v_fma_f16 v1, v1, -0.5, v6
	v_sub_f16_e32 v4, v11, v19
	v_add_f16_e32 v15, v20, v21
	v_fma_f16 v6, v4, s0, v1
	v_fma_f16 v54, v4, s1, v1
	v_add_f16_e32 v1, v41, v11
	v_sub_f16_e32 v4, v17, v18
	v_fma_f16 v16, v15, -0.5, v31
	v_sub_f16_e32 v18, v33, v35
	v_add_f16_e32 v56, v1, v19
	v_add_f16_e32 v1, v11, v19
	v_fma_f16 v15, v18, s1, v16
	v_fma_f16 v16, v18, s0, v16
	v_pack_b32_f16 v18, v32, v39
	v_pack_b32_f16 v7, v8, v7
	v_fma_f16 v1, v1, -0.5, v41
	s_barrier
	ds_write2_b32 v46, v18, v7 offset1:30
	v_pack_b32_f16 v7, v36, v12
	v_fma_f16 v11, v4, s1, v1
	v_fma_f16 v17, v4, s0, v1
	v_add_f16_e32 v4, v33, v35
	ds_write_b32 v46, v7 offset:240
	v_pack_b32_f16 v7, v34, v53
	v_pack_b32_f16 v8, v9, v10
	v_fma_f16 v5, v4, -0.5, v30
	v_sub_f16_e32 v14, v20, v21
	ds_write2_b32 v59, v7, v8 offset1:30
	v_pack_b32_f16 v7, v40, v13
	v_add_f16_e32 v1, v30, v33
	v_fma_f16 v4, v14, s0, v5
	v_fma_f16 v5, v14, s1, v5
	v_add_f16_e32 v14, v31, v20
	ds_write_b32 v59, v7 offset:240
	v_pack_b32_f16 v7, v37, v56
	v_pack_b32_f16 v6, v6, v11
	v_add_f16_e32 v1, v1, v35
	v_add_f16_e32 v14, v14, v21
	ds_write2_b32 v60, v7, v6 offset1:30
	v_pack_b32_f16 v6, v54, v17
	ds_write_b32 v60, v6 offset:240
	s_and_saveexec_b64 s[0:1], vcc
	s_cbranch_execz .LBB0_21
; %bb.20:
	v_and_b32_e32 v6, 0xff, v55
	s_mov_b32 s8, 0x5040100
	v_lshl_add_u32 v6, v6, 2, v52
	v_perm_b32 v7, v14, v1, s8
	v_perm_b32 v8, v15, v4, s8
	ds_write2_b32 v6, v7, v8 offset0:180 offset1:210
	v_perm_b32 v7, v16, v5, s8
	ds_write_b32 v6, v7 offset:960
.LBB0_21:
	s_or_b64 exec, exec, s[0:1]
	s_waitcnt lgkmcnt(0)
	s_barrier
	ds_read2_b32 v[8:9], v46 offset1:27
	ds_read2_b32 v[6:7], v46 offset0:54 offset1:90
	ds_read2_b32 v[12:13], v46 offset0:180 offset1:207
	;; [unrolled: 1-line block ×3, first 2 shown]
	ds_read_b32 v18, v46 offset:936
	v_add_u32_e32 v17, 0xd8, v46
	s_and_saveexec_b64 s[0:1], vcc
	s_cbranch_execz .LBB0_23
; %bb.22:
	v_add_u32_e32 v4, 0x200, v46
	ds_read_b32 v1, v38 offset:324
	ds_read2_b32 v[4:5], v4 offset0:43 offset1:133
	s_waitcnt lgkmcnt(1)
	v_lshrrev_b32_e32 v14, 16, v1
	s_waitcnt lgkmcnt(0)
	v_lshrrev_b32_e32 v15, 16, v4
	v_lshrrev_b32_e32 v16, 16, v5
.LBB0_23:
	s_or_b64 exec, exec, s[0:1]
	s_waitcnt lgkmcnt(3)
	v_lshrrev_b32_e32 v20, 16, v7
	v_mul_f16_sdwa v36, v24, v20 dst_sel:DWORD dst_unused:UNUSED_PAD src0_sel:WORD_1 src1_sel:DWORD
	s_waitcnt lgkmcnt(2)
	v_lshrrev_b32_e32 v21, 16, v12
	v_fma_f16 v36, v24, v7, v36
	v_mul_f16_sdwa v7, v24, v7 dst_sel:DWORD dst_unused:UNUSED_PAD src0_sel:WORD_1 src1_sel:DWORD
	v_fma_f16 v7, v24, v20, -v7
	v_mul_f16_sdwa v20, v25, v21 dst_sel:DWORD dst_unused:UNUSED_PAD src0_sel:WORD_1 src1_sel:DWORD
	s_waitcnt lgkmcnt(1)
	v_lshrrev_b32_e32 v31, 16, v10
	v_lshrrev_b32_e32 v34, 16, v11
	v_fma_f16 v20, v25, v12, v20
	v_mul_f16_sdwa v12, v25, v12 dst_sel:DWORD dst_unused:UNUSED_PAD src0_sel:WORD_1 src1_sel:DWORD
	v_lshrrev_b32_e32 v32, 16, v13
	v_fma_f16 v12, v25, v21, -v12
	v_mul_f16_sdwa v21, v26, v31 dst_sel:DWORD dst_unused:UNUSED_PAD src0_sel:WORD_1 src1_sel:DWORD
	v_mul_f16_sdwa v25, v28, v34 dst_sel:DWORD dst_unused:UNUSED_PAD src0_sel:WORD_1 src1_sel:DWORD
	s_waitcnt lgkmcnt(0)
	v_lshrrev_b32_e32 v35, 16, v18
	v_fma_f16 v21, v26, v10, v21
	v_mul_f16_sdwa v10, v26, v10 dst_sel:DWORD dst_unused:UNUSED_PAD src0_sel:WORD_1 src1_sel:DWORD
	v_mul_f16_sdwa v24, v27, v32 dst_sel:DWORD dst_unused:UNUSED_PAD src0_sel:WORD_1 src1_sel:DWORD
	v_fma_f16 v25, v28, v11, v25
	v_mul_f16_sdwa v11, v28, v11 dst_sel:DWORD dst_unused:UNUSED_PAD src0_sel:WORD_1 src1_sel:DWORD
	v_fma_f16 v10, v26, v31, -v10
	v_fma_f16 v24, v27, v13, v24
	v_mul_f16_sdwa v13, v27, v13 dst_sel:DWORD dst_unused:UNUSED_PAD src0_sel:WORD_1 src1_sel:DWORD
	v_fma_f16 v11, v28, v34, -v11
	v_mul_f16_sdwa v26, v29, v35 dst_sel:DWORD dst_unused:UNUSED_PAD src0_sel:WORD_1 src1_sel:DWORD
	v_add_f16_e32 v28, v36, v20
	v_lshrrev_b32_e32 v19, 16, v8
	v_fma_f16 v13, v27, v32, -v13
	v_fma_f16 v26, v29, v18, v26
	v_mul_f16_sdwa v18, v29, v18 dst_sel:DWORD dst_unused:UNUSED_PAD src0_sel:WORD_1 src1_sel:DWORD
	v_add_f16_e32 v27, v8, v36
	v_fma_f16 v8, v28, -0.5, v8
	v_sub_f16_e32 v28, v7, v12
	s_mov_b32 s8, 0xbaee
	s_movk_i32 s9, 0x3aee
	v_fma_f16 v18, v29, v35, -v18
	v_fma_f16 v29, v28, s8, v8
	v_fma_f16 v8, v28, s9, v8
	v_add_f16_e32 v28, v19, v7
	v_add_f16_e32 v7, v7, v12
	;; [unrolled: 1-line block ×4, first 2 shown]
	v_fma_f16 v7, v7, -0.5, v19
	v_sub_f16_e32 v12, v36, v20
	v_add_f16_e32 v20, v21, v24
	v_lshrrev_b32_e32 v30, 16, v9
	v_fma_f16 v19, v12, s9, v7
	v_fma_f16 v7, v12, s8, v7
	v_add_f16_e32 v12, v9, v21
	v_fma_f16 v9, v20, -0.5, v9
	v_sub_f16_e32 v20, v10, v13
	v_fma_f16 v31, v20, s8, v9
	v_fma_f16 v9, v20, s9, v9
	v_add_f16_e32 v20, v30, v10
	v_add_f16_e32 v10, v10, v13
	;; [unrolled: 1-line block ×4, first 2 shown]
	v_fma_f16 v10, v10, -0.5, v30
	v_sub_f16_e32 v13, v21, v24
	v_add_f16_e32 v24, v25, v26
	v_lshrrev_b32_e32 v33, 16, v6
	v_fma_f16 v21, v13, s9, v10
	v_fma_f16 v10, v13, s8, v10
	v_add_f16_e32 v13, v6, v25
	v_fma_f16 v6, v24, -0.5, v6
	v_sub_f16_e32 v24, v11, v18
	v_fma_f16 v30, v24, s8, v6
	v_fma_f16 v6, v24, s9, v6
	v_add_f16_e32 v24, v33, v11
	v_add_f16_e32 v11, v11, v18
	;; [unrolled: 1-line block ×3, first 2 shown]
	v_fma_f16 v11, v11, -0.5, v33
	v_sub_f16_e32 v18, v25, v26
	v_fma_f16 v25, v18, s9, v11
	v_fma_f16 v11, v18, s8, v11
	v_pack_b32_f16 v18, v27, v28
	v_pack_b32_f16 v7, v8, v7
	ds_write_b32 v46, v18
	v_pack_b32_f16 v18, v29, v19
	ds_write_b32 v38, v7 offset:720
	v_pack_b32_f16 v7, v12, v20
	ds_write_b32 v38, v18 offset:360
	ds_write_b32 v46, v7 offset:108
	v_pack_b32_f16 v7, v31, v21
	v_add_f16_e32 v13, v13, v26
	ds_write_b32 v38, v7 offset:468
	v_pack_b32_f16 v7, v9, v10
	ds_write_b32 v38, v7 offset:828
	v_pack_b32_f16 v7, v13, v24
	;; [unrolled: 2-line block ×3, first 2 shown]
	v_pack_b32_f16 v6, v6, v11
	ds_write2_b32 v17, v7, v6 offset0:90 offset1:180
	s_and_saveexec_b64 s[0:1], vcc
	s_cbranch_execz .LBB0_25
; %bb.24:
	v_mul_f16_sdwa v6, v22, v4 dst_sel:DWORD dst_unused:UNUSED_PAD src0_sel:WORD_1 src1_sel:DWORD
	v_mul_f16_sdwa v7, v23, v5 dst_sel:DWORD dst_unused:UNUSED_PAD src0_sel:WORD_1 src1_sel:DWORD
	;; [unrolled: 1-line block ×3, first 2 shown]
	v_fma_f16 v6, v22, v15, -v6
	v_fma_f16 v7, v23, v16, -v7
	v_fma_f16 v4, v22, v4, v9
	v_mul_f16_sdwa v9, v23, v16 dst_sel:DWORD dst_unused:UNUSED_PAD src0_sel:WORD_1 src1_sel:DWORD
	v_add_f16_e32 v8, v6, v7
	v_fma_f16 v5, v23, v5, v9
	v_fma_f16 v8, v8, -0.5, v14
	v_sub_f16_e32 v9, v4, v5
	v_add_f16_e32 v11, v4, v5
	v_fma_f16 v10, v9, s8, v8
	v_fma_f16 v8, v9, s9, v8
	v_add_f16_e32 v9, v14, v6
	v_fma_f16 v11, v11, -0.5, v1
	v_add_f16_e32 v1, v1, v4
	v_add_f16_e32 v9, v9, v7
	v_sub_f16_e32 v6, v6, v7
	v_add_f16_e32 v1, v1, v5
	v_fma_f16 v7, v6, s9, v11
	v_fma_f16 v6, v6, s8, v11
	v_pack_b32_f16 v1, v1, v9
	ds_write_b32 v38, v1 offset:324
	v_pack_b32_f16 v1, v6, v8
	v_pack_b32_f16 v4, v7, v10
	v_add_u32_e32 v5, 0x200, v38
	ds_write2_b32 v5, v1, v4 offset0:43 offset1:133
.LBB0_25:
	s_or_b64 exec, exec, s[0:1]
	s_waitcnt lgkmcnt(0)
	s_barrier
	ds_read2_b32 v[8:9], v46 offset1:27
	v_mad_u64_u32 v[10:11], s[0:1], s6, v2, 0
	v_mov_b32_e32 v4, v11
	v_mov_b32_e32 v6, s2
	s_waitcnt lgkmcnt(0)
	v_lshrrev_b32_e32 v1, 16, v8
	v_mul_f16_sdwa v5, v51, v1 dst_sel:DWORD dst_unused:UNUSED_PAD src0_sel:WORD_1 src1_sel:DWORD
	v_fma_f16 v5, v51, v8, v5
	v_cvt_f32_f16_e32 v12, v5
	v_mov_b32_e32 v7, s3
	v_mad_u64_u32 v[4:5], s[0:1], s7, v2, v[4:5]
	s_mov_b32 s2, 0xc901e574
	v_mov_b32_e32 v11, v4
	v_cvt_f64_f32_e32 v[4:5], v12
	s_mov_b32 s3, 0x3f6e573a
	v_mul_f64 v[4:5], v[4:5], s[2:3]
	s_movk_i32 s6, 0x1ff
	v_and_or_b32 v2, v5, s6, v4
	v_cmp_ne_u32_e32 vcc, 0, v2
	v_lshrrev_b32_e32 v4, 8, v5
	s_movk_i32 s7, 0xffe
	v_cndmask_b32_e64 v2, 0, 1, vcc
	v_bfe_u32 v12, v5, 20, 11
	v_and_or_b32 v2, v4, s7, v2
	v_sub_u32_e32 v13, 0x3f1, v12
	v_or_b32_e32 v4, 0x1000, v2
	v_med3_i32 v13, v13, 0, 13
	v_lshrrev_b32_e32 v14, v13, v4
	v_lshlrev_b32_e32 v13, v13, v14
	v_cmp_ne_u32_e32 vcc, v13, v4
	v_add_u32_e32 v12, 0xfffffc10, v12
	v_lshl_or_b32 v13, v12, 12, v2
	v_cndmask_b32_e64 v4, 0, 1, vcc
	v_or_b32_e32 v4, v14, v4
	v_cmp_gt_i32_e32 vcc, 1, v12
	v_mul_f16_sdwa v8, v51, v8 dst_sel:DWORD dst_unused:UNUSED_PAD src0_sel:WORD_1 src1_sel:DWORD
	v_fma_f16 v1, v51, v1, -v8
	v_cndmask_b32_e32 v4, v13, v4, vcc
	v_and_b32_e32 v13, 7, v4
	v_cmp_lt_i32_e32 vcc, 5, v13
	v_cmp_eq_u32_e64 s[0:1], 3, v13
	v_lshrrev_b32_e32 v4, 2, v4
	s_or_b64 vcc, s[0:1], vcc
	v_addc_co_u32_e32 v13, vcc, 0, v4, vcc
	v_mov_b32_e32 v4, 0x7c00
	v_cmp_gt_i32_e32 vcc, 31, v12
	v_cvt_f32_f16_e32 v1, v1
	s_movk_i32 s8, 0x40f
	v_cndmask_b32_e32 v13, v4, v13, vcc
	v_cmp_ne_u32_e32 vcc, 0, v2
	s_mov_b32 s9, 0x8000
	v_and_b32_sdwa v5, v5, s9 dst_sel:DWORD dst_unused:UNUSED_PAD src0_sel:WORD_1 src1_sel:DWORD
	v_cndmask_b32_e64 v2, 0, 1, vcc
	v_lshl_or_b32 v2, v2, 9, v4
	v_cmp_eq_u32_e32 vcc, s8, v12
	s_mov_b32 s10, 0xffff
	s_nop 0
	v_cndmask_b32_e32 v8, v13, v2, vcc
	v_cvt_f64_f32_e32 v[12:13], v1
	v_mul_f64 v[12:13], v[12:13], s[2:3]
	v_and_or_b32 v1, v13, s6, v12
	v_cmp_ne_u32_e32 vcc, 0, v1
	v_lshrrev_b32_e32 v2, 8, v13
	v_bfe_u32 v12, v13, 20, 11
	v_cndmask_b32_e64 v1, 0, 1, vcc
	v_and_or_b32 v1, v2, s7, v1
	v_sub_u32_e32 v14, 0x3f1, v12
	v_or_b32_e32 v2, 0x1000, v1
	v_med3_i32 v14, v14, 0, 13
	v_lshrrev_b32_e32 v15, v14, v2
	v_lshlrev_b32_e32 v14, v14, v15
	v_cmp_ne_u32_e32 vcc, v14, v2
	v_add_u32_e32 v12, 0xfffffc10, v12
	v_lshl_or_b32 v14, v12, 12, v1
	v_cndmask_b32_e64 v2, 0, 1, vcc
	v_or_b32_e32 v2, v15, v2
	v_cmp_gt_i32_e32 vcc, 1, v12
	s_nop 1
	v_cndmask_b32_e32 v2, v14, v2, vcc
	v_and_b32_e32 v14, 7, v2
	v_cmp_lt_i32_e32 vcc, 5, v14
	v_cmp_eq_u32_e64 s[0:1], 3, v14
	v_lshrrev_b32_e32 v2, 2, v2
	s_or_b64 vcc, s[0:1], vcc
	v_addc_co_u32_e32 v2, vcc, 0, v2, vcc
	v_cmp_gt_i32_e32 vcc, 31, v12
	s_nop 1
	v_cndmask_b32_e32 v2, v4, v2, vcc
	v_cmp_ne_u32_e32 vcc, 0, v1
	s_nop 1
	v_cndmask_b32_e64 v1, 0, 1, vcc
	v_lshl_or_b32 v1, v1, 9, v4
	v_cmp_eq_u32_e32 vcc, s8, v12
	s_nop 1
	v_cndmask_b32_e32 v1, v2, v1, vcc
	v_lshrrev_b32_e32 v2, 16, v13
	v_mad_u64_u32 v[12:13], s[0:1], s4, v0, 0
	v_and_or_b32 v14, v2, s9, v1
	v_mov_b32_e32 v2, v13
	v_mad_u64_u32 v[0:1], s[0:1], s5, v0, v[2:3]
	v_mov_b32_e32 v13, v0
	v_bitop3_b32 v0, v5, s10, v8 bitop3:0xc8
	v_lshrrev_b32_e32 v5, 16, v9
	v_lshl_or_b32 v2, v14, 16, v0
	v_mul_f16_sdwa v0, v3, v5 dst_sel:DWORD dst_unused:UNUSED_PAD src0_sel:WORD_1 src1_sel:DWORD
	v_fma_f16 v0, v3, v9, v0
	v_cvt_f32_f16_e32 v8, v0
	v_lshl_add_u64 v[0:1], v[10:11], 2, v[6:7]
	v_lshl_add_u64 v[6:7], v[12:13], 2, v[0:1]
	global_store_dword v[6:7], v2, off
	v_cvt_f64_f32_e32 v[0:1], v8
	v_mul_f64 v[0:1], v[0:1], s[2:3]
	v_and_or_b32 v0, v1, s6, v0
	v_cmp_ne_u32_e32 vcc, 0, v0
	v_lshrrev_b32_e32 v2, 8, v1
	v_bfe_u32 v8, v1, 20, 11
	v_cndmask_b32_e64 v0, 0, 1, vcc
	v_and_or_b32 v0, v2, s7, v0
	v_sub_u32_e32 v10, 0x3f1, v8
	v_or_b32_e32 v2, 0x1000, v0
	v_med3_i32 v10, v10, 0, 13
	v_lshrrev_b32_e32 v11, v10, v2
	v_lshlrev_b32_e32 v10, v10, v11
	v_cmp_ne_u32_e32 vcc, v10, v2
	v_add_u32_e32 v8, 0xfffffc10, v8
	v_lshl_or_b32 v10, v8, 12, v0
	v_cndmask_b32_e64 v2, 0, 1, vcc
	v_or_b32_e32 v2, v11, v2
	v_cmp_gt_i32_e32 vcc, 1, v8
	v_mul_f16_sdwa v9, v3, v9 dst_sel:DWORD dst_unused:UNUSED_PAD src0_sel:WORD_1 src1_sel:DWORD
	v_fma_f16 v3, v3, v5, -v9
	v_cndmask_b32_e32 v2, v10, v2, vcc
	v_and_b32_e32 v10, 7, v2
	v_cmp_lt_i32_e32 vcc, 5, v10
	v_cmp_eq_u32_e64 s[0:1], 3, v10
	v_lshrrev_b32_e32 v2, 2, v2
	s_or_b64 vcc, s[0:1], vcc
	v_addc_co_u32_e32 v2, vcc, 0, v2, vcc
	v_cmp_gt_i32_e32 vcc, 31, v8
	v_cvt_f32_f16_e32 v3, v3
	v_and_b32_sdwa v5, v1, s9 dst_sel:DWORD dst_unused:UNUSED_PAD src0_sel:WORD_1 src1_sel:DWORD
	v_cndmask_b32_e32 v2, v4, v2, vcc
	v_cmp_ne_u32_e32 vcc, 0, v0
	s_mulk_i32 s5, 0x6c
	s_nop 0
	v_cndmask_b32_e64 v0, 0, 1, vcc
	v_lshl_or_b32 v0, v0, 9, v4
	v_cmp_eq_u32_e32 vcc, s8, v8
	s_nop 1
	v_cndmask_b32_e32 v2, v2, v0, vcc
	v_cvt_f64_f32_e32 v[0:1], v3
	v_mul_f64 v[0:1], v[0:1], s[2:3]
	v_and_or_b32 v0, v1, s6, v0
	v_cmp_ne_u32_e32 vcc, 0, v0
	v_lshrrev_b32_e32 v3, 8, v1
	v_bfe_u32 v8, v1, 20, 11
	v_cndmask_b32_e64 v0, 0, 1, vcc
	v_and_or_b32 v0, v3, s7, v0
	v_sub_u32_e32 v9, 0x3f1, v8
	v_or_b32_e32 v3, 0x1000, v0
	v_med3_i32 v9, v9, 0, 13
	v_lshrrev_b32_e32 v10, v9, v3
	v_lshlrev_b32_e32 v9, v9, v10
	v_cmp_ne_u32_e32 vcc, v9, v3
	v_add_u32_e32 v8, 0xfffffc10, v8
	v_lshl_or_b32 v9, v8, 12, v0
	v_cndmask_b32_e64 v3, 0, 1, vcc
	v_or_b32_e32 v3, v10, v3
	v_cmp_gt_i32_e32 vcc, 1, v8
	v_lshrrev_b32_e32 v1, 16, v1
	v_bitop3_b32 v2, v5, s10, v2 bitop3:0xc8
	v_cndmask_b32_e32 v3, v9, v3, vcc
	v_and_b32_e32 v9, 7, v3
	v_cmp_lt_i32_e32 vcc, 5, v9
	v_cmp_eq_u32_e64 s[0:1], 3, v9
	v_lshrrev_b32_e32 v3, 2, v3
	s_or_b64 vcc, s[0:1], vcc
	v_addc_co_u32_e32 v3, vcc, 0, v3, vcc
	v_cmp_gt_i32_e32 vcc, 31, v8
	v_mov_b32_e32 v5, 0x6c
	s_nop 0
	v_cndmask_b32_e32 v3, v4, v3, vcc
	v_cmp_ne_u32_e32 vcc, 0, v0
	s_nop 1
	v_cndmask_b32_e64 v0, 0, 1, vcc
	v_lshl_or_b32 v0, v0, 9, v4
	v_cmp_eq_u32_e32 vcc, s8, v8
	s_nop 1
	v_cndmask_b32_e32 v0, v3, v0, vcc
	v_and_or_b32 v3, v1, s9, v0
	ds_read2_b32 v[0:1], v46 offset0:54 offset1:108
	v_lshl_or_b32 v8, v3, 16, v2
	v_mad_u64_u32 v[2:3], s[0:1], s4, v5, v[6:7]
	v_add_u32_e32 v3, s5, v3
	s_waitcnt lgkmcnt(0)
	v_lshrrev_b32_e32 v9, 16, v0
	v_mul_f16_sdwa v6, v50, v9 dst_sel:DWORD dst_unused:UNUSED_PAD src0_sel:WORD_1 src1_sel:DWORD
	v_fma_f16 v6, v50, v0, v6
	v_cvt_f32_f16_e32 v6, v6
	global_store_dword v[2:3], v8, off
	v_mul_f16_sdwa v0, v50, v0 dst_sel:DWORD dst_unused:UNUSED_PAD src0_sel:WORD_1 src1_sel:DWORD
	v_fma_f16 v0, v50, v9, -v0
	v_cvt_f64_f32_e32 v[6:7], v6
	v_mul_f64 v[6:7], v[6:7], s[2:3]
	v_and_or_b32 v6, v7, s6, v6
	v_cmp_ne_u32_e32 vcc, 0, v6
	v_lshrrev_b32_e32 v8, 8, v7
	v_bfe_u32 v10, v7, 20, 11
	v_cndmask_b32_e64 v6, 0, 1, vcc
	v_and_or_b32 v6, v8, s7, v6
	v_sub_u32_e32 v11, 0x3f1, v10
	v_or_b32_e32 v8, 0x1000, v6
	v_med3_i32 v11, v11, 0, 13
	v_lshrrev_b32_e32 v12, v11, v8
	v_lshlrev_b32_e32 v11, v11, v12
	v_cmp_ne_u32_e32 vcc, v11, v8
	v_add_u32_e32 v10, 0xfffffc10, v10
	v_lshl_or_b32 v11, v10, 12, v6
	v_cndmask_b32_e64 v8, 0, 1, vcc
	v_or_b32_e32 v8, v12, v8
	v_cmp_gt_i32_e32 vcc, 1, v10
	v_cvt_f32_f16_e32 v0, v0
	v_and_b32_sdwa v9, v7, s9 dst_sel:DWORD dst_unused:UNUSED_PAD src0_sel:WORD_1 src1_sel:DWORD
	v_cndmask_b32_e32 v8, v11, v8, vcc
	v_and_b32_e32 v11, 7, v8
	v_cmp_lt_i32_e32 vcc, 5, v11
	v_cmp_eq_u32_e64 s[0:1], 3, v11
	v_lshrrev_b32_e32 v8, 2, v8
	s_or_b64 vcc, s[0:1], vcc
	v_addc_co_u32_e32 v8, vcc, 0, v8, vcc
	v_cmp_gt_i32_e32 vcc, 31, v10
	s_nop 1
	v_cndmask_b32_e32 v8, v4, v8, vcc
	v_cmp_ne_u32_e32 vcc, 0, v6
	s_nop 1
	v_cndmask_b32_e64 v6, 0, 1, vcc
	v_lshl_or_b32 v6, v6, 9, v4
	v_cmp_eq_u32_e32 vcc, s8, v10
	s_nop 1
	v_cndmask_b32_e32 v8, v8, v6, vcc
	v_cvt_f64_f32_e32 v[6:7], v0
	v_mul_f64 v[6:7], v[6:7], s[2:3]
	v_and_or_b32 v0, v7, s6, v6
	v_cmp_ne_u32_e32 vcc, 0, v0
	v_lshrrev_b32_e32 v6, 8, v7
	v_bfe_u32 v10, v7, 20, 11
	v_cndmask_b32_e64 v0, 0, 1, vcc
	v_and_or_b32 v0, v6, s7, v0
	v_sub_u32_e32 v11, 0x3f1, v10
	v_or_b32_e32 v6, 0x1000, v0
	v_med3_i32 v11, v11, 0, 13
	v_lshrrev_b32_e32 v12, v11, v6
	v_lshlrev_b32_e32 v11, v11, v12
	v_cmp_ne_u32_e32 vcc, v11, v6
	v_add_u32_e32 v10, 0xfffffc10, v10
	v_lshl_or_b32 v11, v10, 12, v0
	v_cndmask_b32_e64 v6, 0, 1, vcc
	v_or_b32_e32 v6, v12, v6
	v_cmp_gt_i32_e32 vcc, 1, v10
	v_lshrrev_b32_e32 v7, 16, v7
	s_nop 0
	v_cndmask_b32_e32 v6, v11, v6, vcc
	v_and_b32_e32 v11, 7, v6
	v_cmp_lt_i32_e32 vcc, 5, v11
	v_cmp_eq_u32_e64 s[0:1], 3, v11
	v_lshrrev_b32_e32 v6, 2, v6
	s_or_b64 vcc, s[0:1], vcc
	v_addc_co_u32_e32 v6, vcc, 0, v6, vcc
	v_cmp_gt_i32_e32 vcc, 31, v10
	v_mad_u64_u32 v[2:3], s[0:1], s4, v5, v[2:3]
	s_nop 0
	v_cndmask_b32_e32 v6, v4, v6, vcc
	v_cmp_ne_u32_e32 vcc, 0, v0
	v_add_u32_e32 v3, s5, v3
	s_nop 0
	v_cndmask_b32_e64 v0, 0, 1, vcc
	v_lshl_or_b32 v0, v0, 9, v4
	v_cmp_eq_u32_e32 vcc, s8, v10
	s_nop 1
	v_cndmask_b32_e32 v6, v6, v0, vcc
	ds_read_b32 v0, v38 offset:324
	v_and_or_b32 v6, v7, s9, v6
	v_bitop3_b32 v7, v9, s10, v8 bitop3:0xc8
	v_lshl_or_b32 v7, v6, 16, v7
	ds_read_b32 v6, v46 offset:972
	s_waitcnt lgkmcnt(1)
	v_lshrrev_b32_e32 v10, 16, v0
	v_mul_f16_sdwa v8, v49, v10 dst_sel:DWORD dst_unused:UNUSED_PAD src0_sel:WORD_1 src1_sel:DWORD
	v_fma_f16 v8, v49, v0, v8
	v_cvt_f32_f16_e32 v8, v8
	global_store_dword v[2:3], v7, off
	v_mul_f16_sdwa v0, v49, v0 dst_sel:DWORD dst_unused:UNUSED_PAD src0_sel:WORD_1 src1_sel:DWORD
	v_fma_f16 v0, v49, v10, -v0
	v_cvt_f64_f32_e32 v[8:9], v8
	v_mul_f64 v[8:9], v[8:9], s[2:3]
	v_and_or_b32 v7, v9, s6, v8
	v_cmp_ne_u32_e32 vcc, 0, v7
	v_lshrrev_b32_e32 v8, 8, v9
	v_bfe_u32 v11, v9, 20, 11
	v_cndmask_b32_e64 v7, 0, 1, vcc
	v_and_or_b32 v7, v8, s7, v7
	v_sub_u32_e32 v12, 0x3f1, v11
	v_or_b32_e32 v8, 0x1000, v7
	v_med3_i32 v12, v12, 0, 13
	v_lshrrev_b32_e32 v13, v12, v8
	v_lshlrev_b32_e32 v12, v12, v13
	v_cmp_ne_u32_e32 vcc, v12, v8
	v_add_u32_e32 v11, 0xfffffc10, v11
	v_lshl_or_b32 v12, v11, 12, v7
	v_cndmask_b32_e64 v8, 0, 1, vcc
	v_or_b32_e32 v8, v13, v8
	v_cmp_gt_i32_e32 vcc, 1, v11
	v_cvt_f32_f16_e32 v0, v0
	v_and_b32_sdwa v10, v9, s9 dst_sel:DWORD dst_unused:UNUSED_PAD src0_sel:WORD_1 src1_sel:DWORD
	v_cndmask_b32_e32 v8, v12, v8, vcc
	v_and_b32_e32 v12, 7, v8
	v_cmp_lt_i32_e32 vcc, 5, v12
	v_cmp_eq_u32_e64 s[0:1], 3, v12
	v_lshrrev_b32_e32 v8, 2, v8
	s_or_b64 vcc, s[0:1], vcc
	v_addc_co_u32_e32 v8, vcc, 0, v8, vcc
	v_cmp_gt_i32_e32 vcc, 31, v11
	s_nop 1
	v_cndmask_b32_e32 v8, v4, v8, vcc
	v_cmp_ne_u32_e32 vcc, 0, v7
	s_nop 1
	v_cndmask_b32_e64 v7, 0, 1, vcc
	v_lshl_or_b32 v7, v7, 9, v4
	v_cmp_eq_u32_e32 vcc, s8, v11
	s_nop 1
	v_cndmask_b32_e32 v7, v8, v7, vcc
	v_cvt_f64_f32_e32 v[8:9], v0
	v_mul_f64 v[8:9], v[8:9], s[2:3]
	v_and_or_b32 v0, v9, s6, v8
	v_cmp_ne_u32_e32 vcc, 0, v0
	v_lshrrev_b32_e32 v8, 8, v9
	v_bfe_u32 v11, v9, 20, 11
	v_cndmask_b32_e64 v0, 0, 1, vcc
	v_and_or_b32 v0, v8, s7, v0
	v_sub_u32_e32 v12, 0x3f1, v11
	v_or_b32_e32 v8, 0x1000, v0
	v_med3_i32 v12, v12, 0, 13
	v_lshrrev_b32_e32 v13, v12, v8
	v_lshlrev_b32_e32 v12, v12, v13
	v_cmp_ne_u32_e32 vcc, v12, v8
	v_add_u32_e32 v11, 0xfffffc10, v11
	v_lshl_or_b32 v12, v11, 12, v0
	v_cndmask_b32_e64 v8, 0, 1, vcc
	v_or_b32_e32 v8, v13, v8
	v_cmp_gt_i32_e32 vcc, 1, v11
	v_bitop3_b32 v7, v10, s10, v7 bitop3:0xc8
	s_nop 0
	v_cndmask_b32_e32 v8, v12, v8, vcc
	v_and_b32_e32 v12, 7, v8
	v_cmp_lt_i32_e32 vcc, 5, v12
	v_cmp_eq_u32_e64 s[0:1], 3, v12
	v_lshrrev_b32_e32 v8, 2, v8
	s_or_b64 vcc, s[0:1], vcc
	v_addc_co_u32_e32 v8, vcc, 0, v8, vcc
	v_cmp_gt_i32_e32 vcc, 31, v11
	v_mad_u64_u32 v[2:3], s[0:1], s4, v5, v[2:3]
	s_nop 0
	v_cndmask_b32_e32 v8, v4, v8, vcc
	v_cmp_ne_u32_e32 vcc, 0, v0
	v_add_u32_e32 v3, s5, v3
	s_nop 0
	v_cndmask_b32_e64 v0, 0, 1, vcc
	v_lshl_or_b32 v0, v0, 9, v4
	v_cmp_eq_u32_e32 vcc, s8, v11
	s_nop 1
	v_cndmask_b32_e32 v0, v8, v0, vcc
	v_lshrrev_b32_e32 v8, 16, v9
	v_and_or_b32 v0, v8, s9, v0
	v_lshl_or_b32 v0, v0, 16, v7
	v_lshrrev_b32_e32 v7, 16, v1
	v_mul_f16_sdwa v8, v48, v7 dst_sel:DWORD dst_unused:UNUSED_PAD src0_sel:WORD_1 src1_sel:DWORD
	v_fma_f16 v8, v48, v1, v8
	v_cvt_f32_f16_e32 v8, v8
	global_store_dword v[2:3], v0, off
	v_mul_f16_sdwa v1, v48, v1 dst_sel:DWORD dst_unused:UNUSED_PAD src0_sel:WORD_1 src1_sel:DWORD
	v_fma_f16 v1, v48, v7, -v1
	v_cvt_f64_f32_e32 v[8:9], v8
	v_mul_f64 v[8:9], v[8:9], s[2:3]
	v_and_or_b32 v0, v9, s6, v8
	v_cmp_ne_u32_e32 vcc, 0, v0
	v_lshrrev_b32_e32 v8, 8, v9
	v_bfe_u32 v10, v9, 20, 11
	v_cndmask_b32_e64 v0, 0, 1, vcc
	v_and_or_b32 v0, v8, s7, v0
	v_sub_u32_e32 v11, 0x3f1, v10
	v_or_b32_e32 v8, 0x1000, v0
	v_med3_i32 v11, v11, 0, 13
	v_lshrrev_b32_e32 v12, v11, v8
	v_lshlrev_b32_e32 v11, v11, v12
	v_cmp_ne_u32_e32 vcc, v11, v8
	v_add_u32_e32 v10, 0xfffffc10, v10
	v_lshl_or_b32 v11, v10, 12, v0
	v_cndmask_b32_e64 v8, 0, 1, vcc
	v_or_b32_e32 v8, v12, v8
	v_cmp_gt_i32_e32 vcc, 1, v10
	v_cvt_f32_f16_e32 v1, v1
	s_nop 0
	v_cndmask_b32_e32 v8, v11, v8, vcc
	v_and_b32_e32 v11, 7, v8
	v_cmp_lt_i32_e32 vcc, 5, v11
	v_cmp_eq_u32_e64 s[0:1], 3, v11
	v_lshrrev_b32_e32 v8, 2, v8
	s_or_b64 vcc, s[0:1], vcc
	v_addc_co_u32_e32 v8, vcc, 0, v8, vcc
	v_cmp_gt_i32_e32 vcc, 31, v10
	s_nop 1
	v_cndmask_b32_e32 v8, v4, v8, vcc
	v_cmp_ne_u32_e32 vcc, 0, v0
	s_nop 1
	v_cndmask_b32_e64 v0, 0, 1, vcc
	v_lshl_or_b32 v0, v0, 9, v4
	v_cmp_eq_u32_e32 vcc, s8, v10
	v_and_b32_sdwa v10, v9, s9 dst_sel:DWORD dst_unused:UNUSED_PAD src0_sel:WORD_1 src1_sel:DWORD
	s_nop 0
	v_cndmask_b32_e32 v7, v8, v0, vcc
	v_cvt_f64_f32_e32 v[0:1], v1
	v_mul_f64 v[0:1], v[0:1], s[2:3]
	v_and_or_b32 v0, v1, s6, v0
	v_cmp_ne_u32_e32 vcc, 0, v0
	v_lshrrev_b32_e32 v8, 8, v1
	v_bfe_u32 v9, v1, 20, 11
	v_cndmask_b32_e64 v0, 0, 1, vcc
	v_and_or_b32 v0, v8, s7, v0
	v_sub_u32_e32 v11, 0x3f1, v9
	v_or_b32_e32 v8, 0x1000, v0
	v_med3_i32 v11, v11, 0, 13
	v_lshrrev_b32_e32 v12, v11, v8
	v_lshlrev_b32_e32 v11, v11, v12
	v_cmp_ne_u32_e32 vcc, v11, v8
	v_add_u32_e32 v9, 0xfffffc10, v9
	v_lshl_or_b32 v11, v9, 12, v0
	v_cndmask_b32_e64 v8, 0, 1, vcc
	v_or_b32_e32 v8, v12, v8
	v_cmp_gt_i32_e32 vcc, 1, v9
	v_lshrrev_b32_e32 v1, 16, v1
	s_nop 0
	v_cndmask_b32_e32 v8, v11, v8, vcc
	v_and_b32_e32 v11, 7, v8
	v_cmp_lt_i32_e32 vcc, 5, v11
	v_cmp_eq_u32_e64 s[0:1], 3, v11
	v_lshrrev_b32_e32 v8, 2, v8
	s_or_b64 vcc, s[0:1], vcc
	v_addc_co_u32_e32 v8, vcc, 0, v8, vcc
	v_cmp_gt_i32_e32 vcc, 31, v9
	s_nop 1
	v_cndmask_b32_e32 v8, v4, v8, vcc
	v_cmp_ne_u32_e32 vcc, 0, v0
	s_nop 1
	v_cndmask_b32_e64 v0, 0, 1, vcc
	v_lshl_or_b32 v0, v0, 9, v4
	v_cmp_eq_u32_e32 vcc, s8, v9
	s_nop 1
	v_cndmask_b32_e32 v0, v8, v0, vcc
	ds_read2_b32 v[8:9], v46 offset0:135 offset1:162
	v_and_or_b32 v0, v1, s9, v0
	v_bitop3_b32 v1, v10, s10, v7 bitop3:0xc8
	v_lshl_or_b32 v7, v0, 16, v1
	s_waitcnt lgkmcnt(0)
	v_lshrrev_b32_e32 v10, 16, v8
	v_mul_f16_sdwa v0, v47, v10 dst_sel:DWORD dst_unused:UNUSED_PAD src0_sel:WORD_1 src1_sel:DWORD
	v_fma_f16 v0, v47, v8, v0
	v_cvt_f32_f16_e32 v11, v0
	v_mad_u64_u32 v[0:1], s[0:1], s4, v5, v[2:3]
	v_add_u32_e32 v1, s5, v1
	v_cvt_f64_f32_e32 v[2:3], v11
	v_mul_f64 v[2:3], v[2:3], s[2:3]
	v_and_or_b32 v2, v3, s6, v2
	v_cmp_ne_u32_e32 vcc, 0, v2
	global_store_dword v[0:1], v7, off
	v_lshrrev_b32_e32 v7, 8, v3
	v_cndmask_b32_e64 v2, 0, 1, vcc
	v_bfe_u32 v11, v3, 20, 11
	v_and_or_b32 v2, v7, s7, v2
	v_sub_u32_e32 v12, 0x3f1, v11
	v_or_b32_e32 v7, 0x1000, v2
	v_med3_i32 v12, v12, 0, 13
	v_lshrrev_b32_e32 v13, v12, v7
	v_lshlrev_b32_e32 v12, v12, v13
	v_cmp_ne_u32_e32 vcc, v12, v7
	v_add_u32_e32 v11, 0xfffffc10, v11
	v_lshl_or_b32 v12, v11, 12, v2
	v_cndmask_b32_e64 v7, 0, 1, vcc
	v_or_b32_e32 v7, v13, v7
	v_cmp_gt_i32_e32 vcc, 1, v11
	v_mul_f16_sdwa v8, v47, v8 dst_sel:DWORD dst_unused:UNUSED_PAD src0_sel:WORD_1 src1_sel:DWORD
	v_fma_f16 v8, v47, v10, -v8
	v_cndmask_b32_e32 v7, v12, v7, vcc
	v_and_b32_e32 v12, 7, v7
	v_cmp_lt_i32_e32 vcc, 5, v12
	v_cmp_eq_u32_e64 s[0:1], 3, v12
	v_lshrrev_b32_e32 v7, 2, v7
	s_or_b64 vcc, s[0:1], vcc
	v_addc_co_u32_e32 v7, vcc, 0, v7, vcc
	v_cmp_gt_i32_e32 vcc, 31, v11
	v_cvt_f32_f16_e32 v8, v8
	v_and_b32_sdwa v10, v3, s9 dst_sel:DWORD dst_unused:UNUSED_PAD src0_sel:WORD_1 src1_sel:DWORD
	v_cndmask_b32_e32 v7, v4, v7, vcc
	v_cmp_ne_u32_e32 vcc, 0, v2
	s_nop 1
	v_cndmask_b32_e64 v2, 0, 1, vcc
	v_lshl_or_b32 v2, v2, 9, v4
	v_cmp_eq_u32_e32 vcc, s8, v11
	s_nop 1
	v_cndmask_b32_e32 v7, v7, v2, vcc
	v_cvt_f64_f32_e32 v[2:3], v8
	v_mul_f64 v[2:3], v[2:3], s[2:3]
	v_and_or_b32 v2, v3, s6, v2
	v_cmp_ne_u32_e32 vcc, 0, v2
	v_lshrrev_b32_e32 v8, 8, v3
	v_bfe_u32 v11, v3, 20, 11
	v_cndmask_b32_e64 v2, 0, 1, vcc
	v_and_or_b32 v2, v8, s7, v2
	v_sub_u32_e32 v12, 0x3f1, v11
	v_or_b32_e32 v8, 0x1000, v2
	v_med3_i32 v12, v12, 0, 13
	v_lshrrev_b32_e32 v13, v12, v8
	v_lshlrev_b32_e32 v12, v12, v13
	v_cmp_ne_u32_e32 vcc, v12, v8
	v_add_u32_e32 v11, 0xfffffc10, v11
	v_lshl_or_b32 v12, v11, 12, v2
	v_cndmask_b32_e64 v8, 0, 1, vcc
	v_or_b32_e32 v8, v13, v8
	v_cmp_gt_i32_e32 vcc, 1, v11
	v_lshrrev_b32_e32 v3, 16, v3
	s_nop 0
	v_cndmask_b32_e32 v8, v12, v8, vcc
	v_and_b32_e32 v12, 7, v8
	v_cmp_lt_i32_e32 vcc, 5, v12
	v_cmp_eq_u32_e64 s[0:1], 3, v12
	v_lshrrev_b32_e32 v8, 2, v8
	s_or_b64 vcc, s[0:1], vcc
	v_addc_co_u32_e32 v8, vcc, 0, v8, vcc
	v_cmp_gt_i32_e32 vcc, 31, v11
	v_mad_u64_u32 v[0:1], s[0:1], s4, v5, v[0:1]
	s_nop 0
	v_cndmask_b32_e32 v8, v4, v8, vcc
	v_cmp_ne_u32_e32 vcc, 0, v2
	v_add_u32_e32 v1, s5, v1
	s_nop 0
	v_cndmask_b32_e64 v2, 0, 1, vcc
	v_lshl_or_b32 v2, v2, 9, v4
	v_cmp_eq_u32_e32 vcc, s8, v11
	s_nop 1
	v_cndmask_b32_e32 v2, v8, v2, vcc
	v_and_or_b32 v2, v3, s9, v2
	v_bitop3_b32 v3, v10, s10, v7 bitop3:0xc8
	v_lshrrev_b32_e32 v7, 16, v9
	v_lshl_or_b32 v2, v2, 16, v3
	v_mul_f16_sdwa v3, v45, v7 dst_sel:DWORD dst_unused:UNUSED_PAD src0_sel:WORD_1 src1_sel:DWORD
	v_fma_f16 v3, v45, v9, v3
	v_cvt_f32_f16_e32 v3, v3
	global_store_dword v[0:1], v2, off
	v_mul_f16_sdwa v9, v45, v9 dst_sel:DWORD dst_unused:UNUSED_PAD src0_sel:WORD_1 src1_sel:DWORD
	v_fma_f16 v7, v45, v7, -v9
	v_cvt_f64_f32_e32 v[2:3], v3
	v_mul_f64 v[2:3], v[2:3], s[2:3]
	v_and_or_b32 v2, v3, s6, v2
	v_cmp_ne_u32_e32 vcc, 0, v2
	v_lshrrev_b32_e32 v8, 8, v3
	v_bfe_u32 v10, v3, 20, 11
	v_cndmask_b32_e64 v2, 0, 1, vcc
	v_and_or_b32 v2, v8, s7, v2
	v_sub_u32_e32 v11, 0x3f1, v10
	v_or_b32_e32 v8, 0x1000, v2
	v_med3_i32 v11, v11, 0, 13
	v_lshrrev_b32_e32 v12, v11, v8
	v_lshlrev_b32_e32 v11, v11, v12
	v_cmp_ne_u32_e32 vcc, v11, v8
	v_add_u32_e32 v10, 0xfffffc10, v10
	v_lshl_or_b32 v11, v10, 12, v2
	v_cndmask_b32_e64 v8, 0, 1, vcc
	v_or_b32_e32 v8, v12, v8
	v_cmp_gt_i32_e32 vcc, 1, v10
	v_cvt_f32_f16_e32 v7, v7
	s_nop 0
	v_cndmask_b32_e32 v8, v11, v8, vcc
	v_and_b32_e32 v11, 7, v8
	v_cmp_lt_i32_e32 vcc, 5, v11
	v_cmp_eq_u32_e64 s[0:1], 3, v11
	v_lshrrev_b32_e32 v8, 2, v8
	s_or_b64 vcc, s[0:1], vcc
	v_addc_co_u32_e32 v8, vcc, 0, v8, vcc
	v_cmp_gt_i32_e32 vcc, 31, v10
	v_and_b32_sdwa v11, v3, s9 dst_sel:DWORD dst_unused:UNUSED_PAD src0_sel:WORD_1 src1_sel:DWORD
	s_nop 0
	v_cndmask_b32_e32 v8, v4, v8, vcc
	v_cmp_ne_u32_e32 vcc, 0, v2
	s_nop 1
	v_cndmask_b32_e64 v2, 0, 1, vcc
	v_lshl_or_b32 v2, v2, 9, v4
	v_cmp_eq_u32_e32 vcc, s8, v10
	s_nop 1
	v_cndmask_b32_e32 v10, v8, v2, vcc
	v_cvt_f64_f32_e32 v[2:3], v7
	v_mul_f64 v[2:3], v[2:3], s[2:3]
	v_and_or_b32 v2, v3, s6, v2
	v_cmp_ne_u32_e32 vcc, 0, v2
	v_lshrrev_b32_e32 v7, 8, v3
	v_bfe_u32 v8, v3, 20, 11
	v_cndmask_b32_e64 v2, 0, 1, vcc
	v_and_or_b32 v2, v7, s7, v2
	v_sub_u32_e32 v9, 0x3f1, v8
	v_or_b32_e32 v7, 0x1000, v2
	v_med3_i32 v9, v9, 0, 13
	v_lshrrev_b32_e32 v12, v9, v7
	v_lshlrev_b32_e32 v9, v9, v12
	v_cmp_ne_u32_e32 vcc, v9, v7
	v_add_u32_e32 v8, 0xfffffc10, v8
	v_lshl_or_b32 v9, v8, 12, v2
	v_cndmask_b32_e64 v7, 0, 1, vcc
	v_or_b32_e32 v7, v12, v7
	v_cmp_gt_i32_e32 vcc, 1, v8
	v_lshrrev_b32_e32 v3, 16, v3
	s_nop 0
	v_cndmask_b32_e32 v7, v9, v7, vcc
	v_and_b32_e32 v9, 7, v7
	v_cmp_lt_i32_e32 vcc, 5, v9
	v_cmp_eq_u32_e64 s[0:1], 3, v9
	v_lshrrev_b32_e32 v7, 2, v7
	s_or_b64 vcc, s[0:1], vcc
	v_addc_co_u32_e32 v7, vcc, 0, v7, vcc
	v_cmp_gt_i32_e32 vcc, 31, v8
	v_mad_u64_u32 v[0:1], s[0:1], s4, v5, v[0:1]
	s_nop 0
	v_cndmask_b32_e32 v7, v4, v7, vcc
	v_cmp_ne_u32_e32 vcc, 0, v2
	v_add_u32_e32 v1, s5, v1
	s_nop 0
	v_cndmask_b32_e64 v2, 0, 1, vcc
	v_cmp_eq_u32_e32 vcc, s8, v8
	ds_read2_b32 v[8:9], v46 offset0:189 offset1:216
	v_lshl_or_b32 v2, v2, 9, v4
	v_cndmask_b32_e32 v2, v7, v2, vcc
	v_and_or_b32 v2, v3, s9, v2
	v_bitop3_b32 v3, v11, s10, v10 bitop3:0xc8
	s_waitcnt lgkmcnt(0)
	v_lshrrev_b32_e32 v7, 16, v8
	v_lshl_or_b32 v2, v2, 16, v3
	v_mul_f16_sdwa v3, v44, v7 dst_sel:DWORD dst_unused:UNUSED_PAD src0_sel:WORD_1 src1_sel:DWORD
	v_fma_f16 v3, v44, v8, v3
	v_cvt_f32_f16_e32 v3, v3
	global_store_dword v[0:1], v2, off
	v_mul_f16_sdwa v8, v44, v8 dst_sel:DWORD dst_unused:UNUSED_PAD src0_sel:WORD_1 src1_sel:DWORD
	v_fma_f16 v7, v44, v7, -v8
	v_cvt_f64_f32_e32 v[2:3], v3
	v_mul_f64 v[2:3], v[2:3], s[2:3]
	v_and_or_b32 v2, v3, s6, v2
	v_cmp_ne_u32_e32 vcc, 0, v2
	v_lshrrev_b32_e32 v10, 8, v3
	v_bfe_u32 v11, v3, 20, 11
	v_cndmask_b32_e64 v2, 0, 1, vcc
	v_and_or_b32 v2, v10, s7, v2
	v_sub_u32_e32 v12, 0x3f1, v11
	v_or_b32_e32 v10, 0x1000, v2
	v_med3_i32 v12, v12, 0, 13
	v_lshrrev_b32_e32 v13, v12, v10
	v_lshlrev_b32_e32 v12, v12, v13
	v_cmp_ne_u32_e32 vcc, v12, v10
	v_add_u32_e32 v11, 0xfffffc10, v11
	v_lshl_or_b32 v12, v11, 12, v2
	v_cndmask_b32_e64 v10, 0, 1, vcc
	v_or_b32_e32 v10, v13, v10
	v_cmp_gt_i32_e32 vcc, 1, v11
	v_cvt_f32_f16_e32 v7, v7
	s_nop 0
	v_cndmask_b32_e32 v10, v12, v10, vcc
	v_and_b32_e32 v12, 7, v10
	v_cmp_lt_i32_e32 vcc, 5, v12
	v_cmp_eq_u32_e64 s[0:1], 3, v12
	v_lshrrev_b32_e32 v10, 2, v10
	s_or_b64 vcc, s[0:1], vcc
	v_addc_co_u32_e32 v10, vcc, 0, v10, vcc
	v_cmp_gt_i32_e32 vcc, 31, v11
	s_nop 1
	v_cndmask_b32_e32 v10, v4, v10, vcc
	v_cmp_ne_u32_e32 vcc, 0, v2
	s_nop 1
	v_cndmask_b32_e64 v2, 0, 1, vcc
	v_lshl_or_b32 v2, v2, 9, v4
	v_cmp_eq_u32_e32 vcc, s8, v11
	s_nop 1
	v_cndmask_b32_e32 v8, v10, v2, vcc
	v_and_b32_sdwa v10, v3, s9 dst_sel:DWORD dst_unused:UNUSED_PAD src0_sel:WORD_1 src1_sel:DWORD
	v_cvt_f64_f32_e32 v[2:3], v7
	v_mul_f64 v[2:3], v[2:3], s[2:3]
	v_and_or_b32 v2, v3, s6, v2
	v_cmp_ne_u32_e32 vcc, 0, v2
	v_lshrrev_b32_e32 v7, 8, v3
	v_bfe_u32 v11, v3, 20, 11
	v_cndmask_b32_e64 v2, 0, 1, vcc
	v_and_or_b32 v2, v7, s7, v2
	v_sub_u32_e32 v12, 0x3f1, v11
	v_or_b32_e32 v7, 0x1000, v2
	v_med3_i32 v12, v12, 0, 13
	v_lshrrev_b32_e32 v13, v12, v7
	v_lshlrev_b32_e32 v12, v12, v13
	v_cmp_ne_u32_e32 vcc, v12, v7
	v_add_u32_e32 v11, 0xfffffc10, v11
	v_lshl_or_b32 v12, v11, 12, v2
	v_cndmask_b32_e64 v7, 0, 1, vcc
	v_or_b32_e32 v7, v13, v7
	v_cmp_gt_i32_e32 vcc, 1, v11
	v_lshrrev_b32_e32 v3, 16, v3
	s_nop 0
	v_cndmask_b32_e32 v7, v12, v7, vcc
	v_and_b32_e32 v12, 7, v7
	v_cmp_lt_i32_e32 vcc, 5, v12
	v_cmp_eq_u32_e64 s[0:1], 3, v12
	v_lshrrev_b32_e32 v7, 2, v7
	s_or_b64 vcc, s[0:1], vcc
	v_addc_co_u32_e32 v7, vcc, 0, v7, vcc
	v_cmp_gt_i32_e32 vcc, 31, v11
	v_mad_u64_u32 v[0:1], s[0:1], s4, v5, v[0:1]
	s_nop 0
	v_cndmask_b32_e32 v7, v4, v7, vcc
	v_cmp_ne_u32_e32 vcc, 0, v2
	v_add_u32_e32 v1, s5, v1
	s_nop 0
	v_cndmask_b32_e64 v2, 0, 1, vcc
	v_lshl_or_b32 v2, v2, 9, v4
	v_cmp_eq_u32_e32 vcc, s8, v11
	s_nop 1
	v_cndmask_b32_e32 v2, v7, v2, vcc
	v_and_or_b32 v2, v3, s9, v2
	v_bitop3_b32 v3, v10, s10, v8 bitop3:0xc8
	v_lshrrev_b32_e32 v7, 16, v9
	v_lshl_or_b32 v2, v2, 16, v3
	v_mul_f16_sdwa v3, v43, v7 dst_sel:DWORD dst_unused:UNUSED_PAD src0_sel:WORD_1 src1_sel:DWORD
	v_fma_f16 v3, v43, v9, v3
	v_cvt_f32_f16_e32 v3, v3
	global_store_dword v[0:1], v2, off
	v_mul_f16_sdwa v9, v43, v9 dst_sel:DWORD dst_unused:UNUSED_PAD src0_sel:WORD_1 src1_sel:DWORD
	v_fma_f16 v7, v43, v7, -v9
	v_cvt_f64_f32_e32 v[2:3], v3
	v_mul_f64 v[2:3], v[2:3], s[2:3]
	v_and_or_b32 v2, v3, s6, v2
	v_cmp_ne_u32_e32 vcc, 0, v2
	v_lshrrev_b32_e32 v8, 8, v3
	v_bfe_u32 v10, v3, 20, 11
	v_cndmask_b32_e64 v2, 0, 1, vcc
	v_and_or_b32 v2, v8, s7, v2
	v_sub_u32_e32 v11, 0x3f1, v10
	v_or_b32_e32 v8, 0x1000, v2
	v_med3_i32 v11, v11, 0, 13
	v_lshrrev_b32_e32 v12, v11, v8
	v_lshlrev_b32_e32 v11, v11, v12
	v_cmp_ne_u32_e32 vcc, v11, v8
	v_add_u32_e32 v10, 0xfffffc10, v10
	v_lshl_or_b32 v11, v10, 12, v2
	v_cndmask_b32_e64 v8, 0, 1, vcc
	v_or_b32_e32 v8, v12, v8
	v_cmp_gt_i32_e32 vcc, 1, v10
	v_cvt_f32_f16_e32 v7, v7
	v_and_b32_sdwa v9, v3, s9 dst_sel:DWORD dst_unused:UNUSED_PAD src0_sel:WORD_1 src1_sel:DWORD
	v_cndmask_b32_e32 v8, v11, v8, vcc
	v_and_b32_e32 v11, 7, v8
	v_cmp_lt_i32_e32 vcc, 5, v11
	v_cmp_eq_u32_e64 s[0:1], 3, v11
	v_lshrrev_b32_e32 v8, 2, v8
	s_or_b64 vcc, s[0:1], vcc
	v_addc_co_u32_e32 v8, vcc, 0, v8, vcc
	v_cmp_gt_i32_e32 vcc, 31, v10
	s_nop 1
	v_cndmask_b32_e32 v8, v4, v8, vcc
	v_cmp_ne_u32_e32 vcc, 0, v2
	s_nop 1
	v_cndmask_b32_e64 v2, 0, 1, vcc
	v_lshl_or_b32 v2, v2, 9, v4
	v_cmp_eq_u32_e32 vcc, s8, v10
	s_nop 1
	v_cndmask_b32_e32 v8, v8, v2, vcc
	v_cvt_f64_f32_e32 v[2:3], v7
	v_mul_f64 v[2:3], v[2:3], s[2:3]
	v_and_or_b32 v2, v3, s6, v2
	v_cmp_ne_u32_e32 vcc, 0, v2
	v_lshrrev_b32_e32 v7, 8, v3
	v_bfe_u32 v10, v3, 20, 11
	v_cndmask_b32_e64 v2, 0, 1, vcc
	v_and_or_b32 v2, v7, s7, v2
	v_sub_u32_e32 v11, 0x3f1, v10
	v_or_b32_e32 v7, 0x1000, v2
	v_med3_i32 v11, v11, 0, 13
	v_lshrrev_b32_e32 v12, v11, v7
	v_lshlrev_b32_e32 v11, v11, v12
	v_cmp_ne_u32_e32 vcc, v11, v7
	v_add_u32_e32 v10, 0xfffffc10, v10
	v_lshl_or_b32 v11, v10, 12, v2
	v_cndmask_b32_e64 v7, 0, 1, vcc
	v_or_b32_e32 v7, v12, v7
	v_cmp_gt_i32_e32 vcc, 1, v10
	v_lshrrev_b32_e32 v3, 16, v3
	s_nop 0
	v_cndmask_b32_e32 v7, v11, v7, vcc
	v_and_b32_e32 v11, 7, v7
	v_cmp_lt_i32_e32 vcc, 5, v11
	v_cmp_eq_u32_e64 s[0:1], 3, v11
	v_lshrrev_b32_e32 v7, 2, v7
	s_or_b64 vcc, s[0:1], vcc
	v_addc_co_u32_e32 v7, vcc, 0, v7, vcc
	v_cmp_gt_i32_e32 vcc, 31, v10
	v_mad_u64_u32 v[0:1], s[0:1], s4, v5, v[0:1]
	s_nop 0
	v_cndmask_b32_e32 v7, v4, v7, vcc
	v_cmp_ne_u32_e32 vcc, 0, v2
	v_add_u32_e32 v1, s5, v1
	s_nop 0
	v_cndmask_b32_e64 v2, 0, 1, vcc
	v_lshl_or_b32 v2, v2, 9, v4
	v_cmp_eq_u32_e32 vcc, s8, v10
	s_nop 1
	v_cndmask_b32_e32 v2, v7, v2, vcc
	v_and_or_b32 v2, v3, s9, v2
	v_bitop3_b32 v3, v9, s10, v8 bitop3:0xc8
	v_lshrrev_b32_e32 v7, 16, v6
	v_lshl_or_b32 v2, v2, 16, v3
	v_mul_f16_sdwa v3, v42, v7 dst_sel:DWORD dst_unused:UNUSED_PAD src0_sel:WORD_1 src1_sel:DWORD
	v_fma_f16 v3, v42, v6, v3
	v_cvt_f32_f16_e32 v3, v3
	global_store_dword v[0:1], v2, off
	v_mul_f16_sdwa v6, v42, v6 dst_sel:DWORD dst_unused:UNUSED_PAD src0_sel:WORD_1 src1_sel:DWORD
	v_fma_f16 v6, v42, v7, -v6
	v_cvt_f64_f32_e32 v[2:3], v3
	v_mul_f64 v[2:3], v[2:3], s[2:3]
	v_and_or_b32 v2, v3, s6, v2
	v_cmp_ne_u32_e32 vcc, 0, v2
	v_lshrrev_b32_e32 v8, 8, v3
	v_bfe_u32 v9, v3, 20, 11
	v_cndmask_b32_e64 v2, 0, 1, vcc
	v_and_or_b32 v2, v8, s7, v2
	v_sub_u32_e32 v10, 0x3f1, v9
	v_or_b32_e32 v8, 0x1000, v2
	v_med3_i32 v10, v10, 0, 13
	v_lshrrev_b32_e32 v11, v10, v8
	v_lshlrev_b32_e32 v10, v10, v11
	v_cmp_ne_u32_e32 vcc, v10, v8
	v_add_u32_e32 v9, 0xfffffc10, v9
	v_lshl_or_b32 v10, v9, 12, v2
	v_cndmask_b32_e64 v8, 0, 1, vcc
	v_or_b32_e32 v8, v11, v8
	v_cmp_gt_i32_e32 vcc, 1, v9
	v_cvt_f32_f16_e32 v6, v6
	s_nop 0
	v_cndmask_b32_e32 v8, v10, v8, vcc
	v_and_b32_e32 v10, 7, v8
	v_cmp_lt_i32_e32 vcc, 5, v10
	v_cmp_eq_u32_e64 s[0:1], 3, v10
	v_lshrrev_b32_e32 v8, 2, v8
	s_or_b64 vcc, s[0:1], vcc
	v_addc_co_u32_e32 v8, vcc, 0, v8, vcc
	v_cmp_gt_i32_e32 vcc, 31, v9
	s_nop 1
	v_cndmask_b32_e32 v8, v4, v8, vcc
	v_cmp_ne_u32_e32 vcc, 0, v2
	s_nop 1
	v_cndmask_b32_e64 v2, 0, 1, vcc
	v_lshl_or_b32 v2, v2, 9, v4
	v_cmp_eq_u32_e32 vcc, s8, v9
	s_nop 1
	v_cndmask_b32_e32 v7, v8, v2, vcc
	v_and_b32_sdwa v8, v3, s9 dst_sel:DWORD dst_unused:UNUSED_PAD src0_sel:WORD_1 src1_sel:DWORD
	v_cvt_f64_f32_e32 v[2:3], v6
	v_mul_f64 v[2:3], v[2:3], s[2:3]
	v_and_or_b32 v2, v3, s6, v2
	v_cmp_ne_u32_e32 vcc, 0, v2
	v_lshrrev_b32_e32 v6, 8, v3
	v_bfe_u32 v9, v3, 20, 11
	v_cndmask_b32_e64 v2, 0, 1, vcc
	v_and_or_b32 v2, v6, s7, v2
	v_sub_u32_e32 v10, 0x3f1, v9
	v_or_b32_e32 v6, 0x1000, v2
	v_med3_i32 v10, v10, 0, 13
	v_lshrrev_b32_e32 v11, v10, v6
	v_lshlrev_b32_e32 v10, v10, v11
	v_cmp_ne_u32_e32 vcc, v10, v6
	v_add_u32_e32 v9, 0xfffffc10, v9
	v_lshl_or_b32 v10, v9, 12, v2
	v_cndmask_b32_e64 v6, 0, 1, vcc
	v_or_b32_e32 v6, v11, v6
	v_cmp_gt_i32_e32 vcc, 1, v9
	v_lshrrev_b32_e32 v3, 16, v3
	s_nop 0
	v_cndmask_b32_e32 v6, v10, v6, vcc
	v_and_b32_e32 v10, 7, v6
	v_cmp_lt_i32_e32 vcc, 5, v10
	v_cmp_eq_u32_e64 s[0:1], 3, v10
	v_lshrrev_b32_e32 v6, 2, v6
	s_or_b64 vcc, s[0:1], vcc
	v_addc_co_u32_e32 v6, vcc, 0, v6, vcc
	v_cmp_gt_i32_e32 vcc, 31, v9
	v_mad_u64_u32 v[0:1], s[0:1], s4, v5, v[0:1]
	s_nop 0
	v_cndmask_b32_e32 v6, v4, v6, vcc
	v_cmp_ne_u32_e32 vcc, 0, v2
	v_add_u32_e32 v1, s5, v1
	s_nop 0
	v_cndmask_b32_e64 v2, 0, 1, vcc
	v_lshl_or_b32 v2, v2, 9, v4
	v_cmp_eq_u32_e32 vcc, s8, v9
	s_nop 1
	v_cndmask_b32_e32 v2, v6, v2, vcc
	v_and_or_b32 v2, v3, s9, v2
	v_bitop3_b32 v3, v8, s10, v7 bitop3:0xc8
	v_lshl_or_b32 v2, v2, 16, v3
	global_store_dword v[0:1], v2, off
.LBB0_26:
	s_endpgm
	.section	.rodata,"a",@progbits
	.p2align	6, 0x0
	.amdhsa_kernel bluestein_single_back_len270_dim1_half_op_CI_CI
		.amdhsa_group_segment_fixed_size 4320
		.amdhsa_private_segment_fixed_size 0
		.amdhsa_kernarg_size 104
		.amdhsa_user_sgpr_count 2
		.amdhsa_user_sgpr_dispatch_ptr 0
		.amdhsa_user_sgpr_queue_ptr 0
		.amdhsa_user_sgpr_kernarg_segment_ptr 1
		.amdhsa_user_sgpr_dispatch_id 0
		.amdhsa_user_sgpr_kernarg_preload_length 0
		.amdhsa_user_sgpr_kernarg_preload_offset 0
		.amdhsa_user_sgpr_private_segment_size 0
		.amdhsa_uses_dynamic_stack 0
		.amdhsa_enable_private_segment 0
		.amdhsa_system_sgpr_workgroup_id_x 1
		.amdhsa_system_sgpr_workgroup_id_y 0
		.amdhsa_system_sgpr_workgroup_id_z 0
		.amdhsa_system_sgpr_workgroup_info 0
		.amdhsa_system_vgpr_workitem_id 0
		.amdhsa_next_free_vgpr 97
		.amdhsa_next_free_sgpr 20
		.amdhsa_accum_offset 100
		.amdhsa_reserve_vcc 1
		.amdhsa_float_round_mode_32 0
		.amdhsa_float_round_mode_16_64 0
		.amdhsa_float_denorm_mode_32 3
		.amdhsa_float_denorm_mode_16_64 3
		.amdhsa_dx10_clamp 1
		.amdhsa_ieee_mode 1
		.amdhsa_fp16_overflow 0
		.amdhsa_tg_split 0
		.amdhsa_exception_fp_ieee_invalid_op 0
		.amdhsa_exception_fp_denorm_src 0
		.amdhsa_exception_fp_ieee_div_zero 0
		.amdhsa_exception_fp_ieee_overflow 0
		.amdhsa_exception_fp_ieee_underflow 0
		.amdhsa_exception_fp_ieee_inexact 0
		.amdhsa_exception_int_div_zero 0
	.end_amdhsa_kernel
	.text
.Lfunc_end0:
	.size	bluestein_single_back_len270_dim1_half_op_CI_CI, .Lfunc_end0-bluestein_single_back_len270_dim1_half_op_CI_CI
                                        ; -- End function
	.section	.AMDGPU.csdata,"",@progbits
; Kernel info:
; codeLenInByte = 15544
; NumSgprs: 26
; NumVgprs: 97
; NumAgprs: 0
; TotalNumVgprs: 97
; ScratchSize: 0
; MemoryBound: 0
; FloatMode: 240
; IeeeMode: 1
; LDSByteSize: 4320 bytes/workgroup (compile time only)
; SGPRBlocks: 3
; VGPRBlocks: 12
; NumSGPRsForWavesPerEU: 26
; NumVGPRsForWavesPerEU: 97
; AccumOffset: 100
; Occupancy: 4
; WaveLimiterHint : 1
; COMPUTE_PGM_RSRC2:SCRATCH_EN: 0
; COMPUTE_PGM_RSRC2:USER_SGPR: 2
; COMPUTE_PGM_RSRC2:TRAP_HANDLER: 0
; COMPUTE_PGM_RSRC2:TGID_X_EN: 1
; COMPUTE_PGM_RSRC2:TGID_Y_EN: 0
; COMPUTE_PGM_RSRC2:TGID_Z_EN: 0
; COMPUTE_PGM_RSRC2:TIDIG_COMP_CNT: 0
; COMPUTE_PGM_RSRC3_GFX90A:ACCUM_OFFSET: 24
; COMPUTE_PGM_RSRC3_GFX90A:TG_SPLIT: 0
	.text
	.p2alignl 6, 3212836864
	.fill 256, 4, 3212836864
	.type	__hip_cuid_2495f5ba0d65b97b,@object ; @__hip_cuid_2495f5ba0d65b97b
	.section	.bss,"aw",@nobits
	.globl	__hip_cuid_2495f5ba0d65b97b
__hip_cuid_2495f5ba0d65b97b:
	.byte	0                               ; 0x0
	.size	__hip_cuid_2495f5ba0d65b97b, 1

	.ident	"AMD clang version 19.0.0git (https://github.com/RadeonOpenCompute/llvm-project roc-6.4.0 25133 c7fe45cf4b819c5991fe208aaa96edf142730f1d)"
	.section	".note.GNU-stack","",@progbits
	.addrsig
	.addrsig_sym __hip_cuid_2495f5ba0d65b97b
	.amdgpu_metadata
---
amdhsa.kernels:
  - .agpr_count:     0
    .args:
      - .actual_access:  read_only
        .address_space:  global
        .offset:         0
        .size:           8
        .value_kind:     global_buffer
      - .actual_access:  read_only
        .address_space:  global
        .offset:         8
        .size:           8
        .value_kind:     global_buffer
      - .actual_access:  read_only
        .address_space:  global
        .offset:         16
        .size:           8
        .value_kind:     global_buffer
      - .actual_access:  read_only
        .address_space:  global
        .offset:         24
        .size:           8
        .value_kind:     global_buffer
      - .actual_access:  read_only
        .address_space:  global
        .offset:         32
        .size:           8
        .value_kind:     global_buffer
      - .offset:         40
        .size:           8
        .value_kind:     by_value
      - .address_space:  global
        .offset:         48
        .size:           8
        .value_kind:     global_buffer
      - .address_space:  global
        .offset:         56
        .size:           8
        .value_kind:     global_buffer
      - .address_space:  global
        .offset:         64
        .size:           8
        .value_kind:     global_buffer
      - .address_space:  global
        .offset:         72
        .size:           8
        .value_kind:     global_buffer
      - .offset:         80
        .size:           4
        .value_kind:     by_value
      - .address_space:  global
        .offset:         88
        .size:           8
        .value_kind:     global_buffer
      - .address_space:  global
        .offset:         96
        .size:           8
        .value_kind:     global_buffer
    .group_segment_fixed_size: 4320
    .kernarg_segment_align: 8
    .kernarg_segment_size: 104
    .language:       OpenCL C
    .language_version:
      - 2
      - 0
    .max_flat_workgroup_size: 108
    .name:           bluestein_single_back_len270_dim1_half_op_CI_CI
    .private_segment_fixed_size: 0
    .sgpr_count:     26
    .sgpr_spill_count: 0
    .symbol:         bluestein_single_back_len270_dim1_half_op_CI_CI.kd
    .uniform_work_group_size: 1
    .uses_dynamic_stack: false
    .vgpr_count:     97
    .vgpr_spill_count: 0
    .wavefront_size: 64
amdhsa.target:   amdgcn-amd-amdhsa--gfx950
amdhsa.version:
  - 1
  - 2
...

	.end_amdgpu_metadata
